;; amdgpu-corpus repo=ROCm/composable_kernel kind=compiled arch=gfx1201 opt=O3
	.amdgcn_target "amdgcn-amd-amdhsa--gfx1201"
	.amdhsa_code_object_version 6
	.section	.text._ZN2ckL12flush_icacheEv,"axG",@progbits,_ZN2ckL12flush_icacheEv,comdat
	.globl	_ZN2ckL12flush_icacheEv         ; -- Begin function _ZN2ckL12flush_icacheEv
	.p2align	8
	.type	_ZN2ckL12flush_icacheEv,@function
_ZN2ckL12flush_icacheEv:                ; @_ZN2ckL12flush_icacheEv
; %bb.0:
	;;#ASMSTART
	s_icache_inv 
	s_nop 0 
	s_nop 0 
	;; [unrolled: 1-line block ×16, first 2 shown]
	
	;;#ASMEND
	s_endpgm
	.section	.rodata,"a",@progbits
	.p2align	6, 0x0
	.amdhsa_kernel _ZN2ckL12flush_icacheEv
		.amdhsa_group_segment_fixed_size 0
		.amdhsa_private_segment_fixed_size 0
		.amdhsa_kernarg_size 0
		.amdhsa_user_sgpr_count 0
		.amdhsa_user_sgpr_dispatch_ptr 0
		.amdhsa_user_sgpr_queue_ptr 0
		.amdhsa_user_sgpr_kernarg_segment_ptr 0
		.amdhsa_user_sgpr_dispatch_id 0
		.amdhsa_user_sgpr_private_segment_size 0
		.amdhsa_wavefront_size32 1
		.amdhsa_uses_dynamic_stack 0
		.amdhsa_enable_private_segment 0
		.amdhsa_system_sgpr_workgroup_id_x 1
		.amdhsa_system_sgpr_workgroup_id_y 0
		.amdhsa_system_sgpr_workgroup_id_z 0
		.amdhsa_system_sgpr_workgroup_info 0
		.amdhsa_system_vgpr_workitem_id 0
		.amdhsa_next_free_vgpr 1
		.amdhsa_next_free_sgpr 1
		.amdhsa_reserve_vcc 0
		.amdhsa_float_round_mode_32 0
		.amdhsa_float_round_mode_16_64 0
		.amdhsa_float_denorm_mode_32 3
		.amdhsa_float_denorm_mode_16_64 3
		.amdhsa_fp16_overflow 0
		.amdhsa_workgroup_processor_mode 1
		.amdhsa_memory_ordered 1
		.amdhsa_forward_progress 1
		.amdhsa_inst_pref_size 1
		.amdhsa_round_robin_scheduling 0
		.amdhsa_exception_fp_ieee_invalid_op 0
		.amdhsa_exception_fp_denorm_src 0
		.amdhsa_exception_fp_ieee_div_zero 0
		.amdhsa_exception_fp_ieee_overflow 0
		.amdhsa_exception_fp_ieee_underflow 0
		.amdhsa_exception_fp_ieee_inexact 0
		.amdhsa_exception_int_div_zero 0
	.end_amdhsa_kernel
	.section	.text._ZN2ckL12flush_icacheEv,"axG",@progbits,_ZN2ckL12flush_icacheEv,comdat
.Lfunc_end0:
	.size	_ZN2ckL12flush_icacheEv, .Lfunc_end0-_ZN2ckL12flush_icacheEv
                                        ; -- End function
	.set _ZN2ckL12flush_icacheEv.num_vgpr, 0
	.set _ZN2ckL12flush_icacheEv.num_agpr, 0
	.set _ZN2ckL12flush_icacheEv.numbered_sgpr, 0
	.set _ZN2ckL12flush_icacheEv.num_named_barrier, 0
	.set _ZN2ckL12flush_icacheEv.private_seg_size, 0
	.set _ZN2ckL12flush_icacheEv.uses_vcc, 0
	.set _ZN2ckL12flush_icacheEv.uses_flat_scratch, 0
	.set _ZN2ckL12flush_icacheEv.has_dyn_sized_stack, 0
	.set _ZN2ckL12flush_icacheEv.has_recursion, 0
	.set _ZN2ckL12flush_icacheEv.has_indirect_call, 0
	.section	.AMDGPU.csdata,"",@progbits
; Kernel info:
; codeLenInByte = 4
; TotalNumSgprs: 0
; NumVgprs: 0
; ScratchSize: 0
; MemoryBound: 0
; FloatMode: 240
; IeeeMode: 1
; LDSByteSize: 0 bytes/workgroup (compile time only)
; SGPRBlocks: 0
; VGPRBlocks: 0
; NumSGPRsForWavesPerEU: 1
; NumVGPRsForWavesPerEU: 1
; Occupancy: 16
; WaveLimiterHint : 0
; COMPUTE_PGM_RSRC2:SCRATCH_EN: 0
; COMPUTE_PGM_RSRC2:USER_SGPR: 0
; COMPUTE_PGM_RSRC2:TRAP_HANDLER: 0
; COMPUTE_PGM_RSRC2:TGID_X_EN: 1
; COMPUTE_PGM_RSRC2:TGID_Y_EN: 0
; COMPUTE_PGM_RSRC2:TGID_Z_EN: 0
; COMPUTE_PGM_RSRC2:TIDIG_COMP_CNT: 0
	.section	.text._ZN2ck37kernel_gemm_xdl_waveletmodel_cshuffleINS_53GridwiseGemm_k0mk1_k0nk1_mn_xdl_waveletmodel_cshuffleIDF16_fDF16_DF16_NS_16tensor_operation12element_wise11PassThroughES4_S4_LNS_25InMemoryDataOperationEnumE0ENS_16TensorDescriptorINS_5TupleIJNS_5EmbedINS7_IJiiEEENS7_IJiNS_17integral_constantIiLi1EEEEEELb0EEENS_11PassThroughIiEESF_EEENS7_IJNS_8SequenceIJLi0EEEENSH_IJLi1EEEENSH_IJLi2EEEEEEENS7_IJNSH_IJLi1ELi2EEEENSH_IJLi3EEEENSH_IJLi4EEEEEEENSH_IJLi3ELi4EEEElEESR_SR_Li1ELi256ELi256ELi256ELi128ELi32ELi8ELi8ELi16ELi16ELi8ELi4ENSH_IJLi4ELi64ELi1EEEENSH_IJLi1ELi0ELi2EEEEST_Li2ELi8ELi8ELb0ELi1ESS_ST_ST_Li2ELi8ELi8ELb0ELi1ELi1ELi1ENSH_IJLi1ELi32ELi1ELi8EEEELi4EEEDF16_DF16_S4_S4_S4_NS6_INS7_IJSD_SF_SF_NS_7UnMergeINS7_IJiNSA_IiLi8EEEEEELb0EEESF_EEENS7_IJSI_SJ_SK_SO_SN_EEENS7_IJSM_SN_SO_NSH_IJLi5ELi6EEEENSH_IJLi7EEEEEEENSH_IJLi5ELi7ELi6EEEElEES16_NS6_INS7_IJSD_SF_SF_NSW_INS7_IJiNSA_IiLi256EEEEEELb0EEENSW_INS7_IJiNSA_IiLi128EEEEEELb0EEEEEENS7_IJSI_SJ_SK_SN_SO_EEENS7_IJSM_SN_SO_S12_NSH_IJLi7ELi8EEEEEEENSH_IJLi5ELi6ELi7ELi8EEEElEENS_13TensorAdaptorINS7_IJNSW_ISC_Lb0EEES1K_NS_23Merge_v2_magic_divisionINS7_IJiiSB_SB_EEEEEEEENS7_IJSI_SJ_NSH_IJLi2ELi3ELi4ELi5EEEEEEENS7_IJNSH_IJLi2ELi4EEEENSH_IJLi3ELi5EEEENSH_IJLi6EEEEEEENSH_IJLi0ELi1EEEES1T_EELb1EEEvPKT0_S1Z_PT1_T2_T3_T4_T5_T6_T7_T8_,"axG",@progbits,_ZN2ck37kernel_gemm_xdl_waveletmodel_cshuffleINS_53GridwiseGemm_k0mk1_k0nk1_mn_xdl_waveletmodel_cshuffleIDF16_fDF16_DF16_NS_16tensor_operation12element_wise11PassThroughES4_S4_LNS_25InMemoryDataOperationEnumE0ENS_16TensorDescriptorINS_5TupleIJNS_5EmbedINS7_IJiiEEENS7_IJiNS_17integral_constantIiLi1EEEEEELb0EEENS_11PassThroughIiEESF_EEENS7_IJNS_8SequenceIJLi0EEEENSH_IJLi1EEEENSH_IJLi2EEEEEEENS7_IJNSH_IJLi1ELi2EEEENSH_IJLi3EEEENSH_IJLi4EEEEEEENSH_IJLi3ELi4EEEElEESR_SR_Li1ELi256ELi256ELi256ELi128ELi32ELi8ELi8ELi16ELi16ELi8ELi4ENSH_IJLi4ELi64ELi1EEEENSH_IJLi1ELi0ELi2EEEEST_Li2ELi8ELi8ELb0ELi1ESS_ST_ST_Li2ELi8ELi8ELb0ELi1ELi1ELi1ENSH_IJLi1ELi32ELi1ELi8EEEELi4EEEDF16_DF16_S4_S4_S4_NS6_INS7_IJSD_SF_SF_NS_7UnMergeINS7_IJiNSA_IiLi8EEEEEELb0EEESF_EEENS7_IJSI_SJ_SK_SO_SN_EEENS7_IJSM_SN_SO_NSH_IJLi5ELi6EEEENSH_IJLi7EEEEEEENSH_IJLi5ELi7ELi6EEEElEES16_NS6_INS7_IJSD_SF_SF_NSW_INS7_IJiNSA_IiLi256EEEEEELb0EEENSW_INS7_IJiNSA_IiLi128EEEEEELb0EEEEEENS7_IJSI_SJ_SK_SN_SO_EEENS7_IJSM_SN_SO_S12_NSH_IJLi7ELi8EEEEEEENSH_IJLi5ELi6ELi7ELi8EEEElEENS_13TensorAdaptorINS7_IJNSW_ISC_Lb0EEES1K_NS_23Merge_v2_magic_divisionINS7_IJiiSB_SB_EEEEEEEENS7_IJSI_SJ_NSH_IJLi2ELi3ELi4ELi5EEEEEEENS7_IJNSH_IJLi2ELi4EEEENSH_IJLi3ELi5EEEENSH_IJLi6EEEEEEENSH_IJLi0ELi1EEEES1T_EELb1EEEvPKT0_S1Z_PT1_T2_T3_T4_T5_T6_T7_T8_,comdat
	.protected	_ZN2ck37kernel_gemm_xdl_waveletmodel_cshuffleINS_53GridwiseGemm_k0mk1_k0nk1_mn_xdl_waveletmodel_cshuffleIDF16_fDF16_DF16_NS_16tensor_operation12element_wise11PassThroughES4_S4_LNS_25InMemoryDataOperationEnumE0ENS_16TensorDescriptorINS_5TupleIJNS_5EmbedINS7_IJiiEEENS7_IJiNS_17integral_constantIiLi1EEEEEELb0EEENS_11PassThroughIiEESF_EEENS7_IJNS_8SequenceIJLi0EEEENSH_IJLi1EEEENSH_IJLi2EEEEEEENS7_IJNSH_IJLi1ELi2EEEENSH_IJLi3EEEENSH_IJLi4EEEEEEENSH_IJLi3ELi4EEEElEESR_SR_Li1ELi256ELi256ELi256ELi128ELi32ELi8ELi8ELi16ELi16ELi8ELi4ENSH_IJLi4ELi64ELi1EEEENSH_IJLi1ELi0ELi2EEEEST_Li2ELi8ELi8ELb0ELi1ESS_ST_ST_Li2ELi8ELi8ELb0ELi1ELi1ELi1ENSH_IJLi1ELi32ELi1ELi8EEEELi4EEEDF16_DF16_S4_S4_S4_NS6_INS7_IJSD_SF_SF_NS_7UnMergeINS7_IJiNSA_IiLi8EEEEEELb0EEESF_EEENS7_IJSI_SJ_SK_SO_SN_EEENS7_IJSM_SN_SO_NSH_IJLi5ELi6EEEENSH_IJLi7EEEEEEENSH_IJLi5ELi7ELi6EEEElEES16_NS6_INS7_IJSD_SF_SF_NSW_INS7_IJiNSA_IiLi256EEEEEELb0EEENSW_INS7_IJiNSA_IiLi128EEEEEELb0EEEEEENS7_IJSI_SJ_SK_SN_SO_EEENS7_IJSM_SN_SO_S12_NSH_IJLi7ELi8EEEEEEENSH_IJLi5ELi6ELi7ELi8EEEElEENS_13TensorAdaptorINS7_IJNSW_ISC_Lb0EEES1K_NS_23Merge_v2_magic_divisionINS7_IJiiSB_SB_EEEEEEEENS7_IJSI_SJ_NSH_IJLi2ELi3ELi4ELi5EEEEEEENS7_IJNSH_IJLi2ELi4EEEENSH_IJLi3ELi5EEEENSH_IJLi6EEEEEEENSH_IJLi0ELi1EEEES1T_EELb1EEEvPKT0_S1Z_PT1_T2_T3_T4_T5_T6_T7_T8_ ; -- Begin function _ZN2ck37kernel_gemm_xdl_waveletmodel_cshuffleINS_53GridwiseGemm_k0mk1_k0nk1_mn_xdl_waveletmodel_cshuffleIDF16_fDF16_DF16_NS_16tensor_operation12element_wise11PassThroughES4_S4_LNS_25InMemoryDataOperationEnumE0ENS_16TensorDescriptorINS_5TupleIJNS_5EmbedINS7_IJiiEEENS7_IJiNS_17integral_constantIiLi1EEEEEELb0EEENS_11PassThroughIiEESF_EEENS7_IJNS_8SequenceIJLi0EEEENSH_IJLi1EEEENSH_IJLi2EEEEEEENS7_IJNSH_IJLi1ELi2EEEENSH_IJLi3EEEENSH_IJLi4EEEEEEENSH_IJLi3ELi4EEEElEESR_SR_Li1ELi256ELi256ELi256ELi128ELi32ELi8ELi8ELi16ELi16ELi8ELi4ENSH_IJLi4ELi64ELi1EEEENSH_IJLi1ELi0ELi2EEEEST_Li2ELi8ELi8ELb0ELi1ESS_ST_ST_Li2ELi8ELi8ELb0ELi1ELi1ELi1ENSH_IJLi1ELi32ELi1ELi8EEEELi4EEEDF16_DF16_S4_S4_S4_NS6_INS7_IJSD_SF_SF_NS_7UnMergeINS7_IJiNSA_IiLi8EEEEEELb0EEESF_EEENS7_IJSI_SJ_SK_SO_SN_EEENS7_IJSM_SN_SO_NSH_IJLi5ELi6EEEENSH_IJLi7EEEEEEENSH_IJLi5ELi7ELi6EEEElEES16_NS6_INS7_IJSD_SF_SF_NSW_INS7_IJiNSA_IiLi256EEEEEELb0EEENSW_INS7_IJiNSA_IiLi128EEEEEELb0EEEEEENS7_IJSI_SJ_SK_SN_SO_EEENS7_IJSM_SN_SO_S12_NSH_IJLi7ELi8EEEEEEENSH_IJLi5ELi6ELi7ELi8EEEElEENS_13TensorAdaptorINS7_IJNSW_ISC_Lb0EEES1K_NS_23Merge_v2_magic_divisionINS7_IJiiSB_SB_EEEEEEEENS7_IJSI_SJ_NSH_IJLi2ELi3ELi4ELi5EEEEEEENS7_IJNSH_IJLi2ELi4EEEENSH_IJLi3ELi5EEEENSH_IJLi6EEEEEEENSH_IJLi0ELi1EEEES1T_EELb1EEEvPKT0_S1Z_PT1_T2_T3_T4_T5_T6_T7_T8_
	.globl	_ZN2ck37kernel_gemm_xdl_waveletmodel_cshuffleINS_53GridwiseGemm_k0mk1_k0nk1_mn_xdl_waveletmodel_cshuffleIDF16_fDF16_DF16_NS_16tensor_operation12element_wise11PassThroughES4_S4_LNS_25InMemoryDataOperationEnumE0ENS_16TensorDescriptorINS_5TupleIJNS_5EmbedINS7_IJiiEEENS7_IJiNS_17integral_constantIiLi1EEEEEELb0EEENS_11PassThroughIiEESF_EEENS7_IJNS_8SequenceIJLi0EEEENSH_IJLi1EEEENSH_IJLi2EEEEEEENS7_IJNSH_IJLi1ELi2EEEENSH_IJLi3EEEENSH_IJLi4EEEEEEENSH_IJLi3ELi4EEEElEESR_SR_Li1ELi256ELi256ELi256ELi128ELi32ELi8ELi8ELi16ELi16ELi8ELi4ENSH_IJLi4ELi64ELi1EEEENSH_IJLi1ELi0ELi2EEEEST_Li2ELi8ELi8ELb0ELi1ESS_ST_ST_Li2ELi8ELi8ELb0ELi1ELi1ELi1ENSH_IJLi1ELi32ELi1ELi8EEEELi4EEEDF16_DF16_S4_S4_S4_NS6_INS7_IJSD_SF_SF_NS_7UnMergeINS7_IJiNSA_IiLi8EEEEEELb0EEESF_EEENS7_IJSI_SJ_SK_SO_SN_EEENS7_IJSM_SN_SO_NSH_IJLi5ELi6EEEENSH_IJLi7EEEEEEENSH_IJLi5ELi7ELi6EEEElEES16_NS6_INS7_IJSD_SF_SF_NSW_INS7_IJiNSA_IiLi256EEEEEELb0EEENSW_INS7_IJiNSA_IiLi128EEEEEELb0EEEEEENS7_IJSI_SJ_SK_SN_SO_EEENS7_IJSM_SN_SO_S12_NSH_IJLi7ELi8EEEEEEENSH_IJLi5ELi6ELi7ELi8EEEElEENS_13TensorAdaptorINS7_IJNSW_ISC_Lb0EEES1K_NS_23Merge_v2_magic_divisionINS7_IJiiSB_SB_EEEEEEEENS7_IJSI_SJ_NSH_IJLi2ELi3ELi4ELi5EEEEEEENS7_IJNSH_IJLi2ELi4EEEENSH_IJLi3ELi5EEEENSH_IJLi6EEEEEEENSH_IJLi0ELi1EEEES1T_EELb1EEEvPKT0_S1Z_PT1_T2_T3_T4_T5_T6_T7_T8_
	.p2align	8
	.type	_ZN2ck37kernel_gemm_xdl_waveletmodel_cshuffleINS_53GridwiseGemm_k0mk1_k0nk1_mn_xdl_waveletmodel_cshuffleIDF16_fDF16_DF16_NS_16tensor_operation12element_wise11PassThroughES4_S4_LNS_25InMemoryDataOperationEnumE0ENS_16TensorDescriptorINS_5TupleIJNS_5EmbedINS7_IJiiEEENS7_IJiNS_17integral_constantIiLi1EEEEEELb0EEENS_11PassThroughIiEESF_EEENS7_IJNS_8SequenceIJLi0EEEENSH_IJLi1EEEENSH_IJLi2EEEEEEENS7_IJNSH_IJLi1ELi2EEEENSH_IJLi3EEEENSH_IJLi4EEEEEEENSH_IJLi3ELi4EEEElEESR_SR_Li1ELi256ELi256ELi256ELi128ELi32ELi8ELi8ELi16ELi16ELi8ELi4ENSH_IJLi4ELi64ELi1EEEENSH_IJLi1ELi0ELi2EEEEST_Li2ELi8ELi8ELb0ELi1ESS_ST_ST_Li2ELi8ELi8ELb0ELi1ELi1ELi1ENSH_IJLi1ELi32ELi1ELi8EEEELi4EEEDF16_DF16_S4_S4_S4_NS6_INS7_IJSD_SF_SF_NS_7UnMergeINS7_IJiNSA_IiLi8EEEEEELb0EEESF_EEENS7_IJSI_SJ_SK_SO_SN_EEENS7_IJSM_SN_SO_NSH_IJLi5ELi6EEEENSH_IJLi7EEEEEEENSH_IJLi5ELi7ELi6EEEElEES16_NS6_INS7_IJSD_SF_SF_NSW_INS7_IJiNSA_IiLi256EEEEEELb0EEENSW_INS7_IJiNSA_IiLi128EEEEEELb0EEEEEENS7_IJSI_SJ_SK_SN_SO_EEENS7_IJSM_SN_SO_S12_NSH_IJLi7ELi8EEEEEEENSH_IJLi5ELi6ELi7ELi8EEEElEENS_13TensorAdaptorINS7_IJNSW_ISC_Lb0EEES1K_NS_23Merge_v2_magic_divisionINS7_IJiiSB_SB_EEEEEEEENS7_IJSI_SJ_NSH_IJLi2ELi3ELi4ELi5EEEEEEENS7_IJNSH_IJLi2ELi4EEEENSH_IJLi3ELi5EEEENSH_IJLi6EEEEEEENSH_IJLi0ELi1EEEES1T_EELb1EEEvPKT0_S1Z_PT1_T2_T3_T4_T5_T6_T7_T8_,@function
_ZN2ck37kernel_gemm_xdl_waveletmodel_cshuffleINS_53GridwiseGemm_k0mk1_k0nk1_mn_xdl_waveletmodel_cshuffleIDF16_fDF16_DF16_NS_16tensor_operation12element_wise11PassThroughES4_S4_LNS_25InMemoryDataOperationEnumE0ENS_16TensorDescriptorINS_5TupleIJNS_5EmbedINS7_IJiiEEENS7_IJiNS_17integral_constantIiLi1EEEEEELb0EEENS_11PassThroughIiEESF_EEENS7_IJNS_8SequenceIJLi0EEEENSH_IJLi1EEEENSH_IJLi2EEEEEEENS7_IJNSH_IJLi1ELi2EEEENSH_IJLi3EEEENSH_IJLi4EEEEEEENSH_IJLi3ELi4EEEElEESR_SR_Li1ELi256ELi256ELi256ELi128ELi32ELi8ELi8ELi16ELi16ELi8ELi4ENSH_IJLi4ELi64ELi1EEEENSH_IJLi1ELi0ELi2EEEEST_Li2ELi8ELi8ELb0ELi1ESS_ST_ST_Li2ELi8ELi8ELb0ELi1ELi1ELi1ENSH_IJLi1ELi32ELi1ELi8EEEELi4EEEDF16_DF16_S4_S4_S4_NS6_INS7_IJSD_SF_SF_NS_7UnMergeINS7_IJiNSA_IiLi8EEEEEELb0EEESF_EEENS7_IJSI_SJ_SK_SO_SN_EEENS7_IJSM_SN_SO_NSH_IJLi5ELi6EEEENSH_IJLi7EEEEEEENSH_IJLi5ELi7ELi6EEEElEES16_NS6_INS7_IJSD_SF_SF_NSW_INS7_IJiNSA_IiLi256EEEEEELb0EEENSW_INS7_IJiNSA_IiLi128EEEEEELb0EEEEEENS7_IJSI_SJ_SK_SN_SO_EEENS7_IJSM_SN_SO_S12_NSH_IJLi7ELi8EEEEEEENSH_IJLi5ELi6ELi7ELi8EEEElEENS_13TensorAdaptorINS7_IJNSW_ISC_Lb0EEES1K_NS_23Merge_v2_magic_divisionINS7_IJiiSB_SB_EEEEEEEENS7_IJSI_SJ_NSH_IJLi2ELi3ELi4ELi5EEEEEEENS7_IJNSH_IJLi2ELi4EEEENSH_IJLi3ELi5EEEENSH_IJLi6EEEEEEENSH_IJLi0ELi1EEEES1T_EELb1EEEvPKT0_S1Z_PT1_T2_T3_T4_T5_T6_T7_T8_: ; @_ZN2ck37kernel_gemm_xdl_waveletmodel_cshuffleINS_53GridwiseGemm_k0mk1_k0nk1_mn_xdl_waveletmodel_cshuffleIDF16_fDF16_DF16_NS_16tensor_operation12element_wise11PassThroughES4_S4_LNS_25InMemoryDataOperationEnumE0ENS_16TensorDescriptorINS_5TupleIJNS_5EmbedINS7_IJiiEEENS7_IJiNS_17integral_constantIiLi1EEEEEELb0EEENS_11PassThroughIiEESF_EEENS7_IJNS_8SequenceIJLi0EEEENSH_IJLi1EEEENSH_IJLi2EEEEEEENS7_IJNSH_IJLi1ELi2EEEENSH_IJLi3EEEENSH_IJLi4EEEEEEENSH_IJLi3ELi4EEEElEESR_SR_Li1ELi256ELi256ELi256ELi128ELi32ELi8ELi8ELi16ELi16ELi8ELi4ENSH_IJLi4ELi64ELi1EEEENSH_IJLi1ELi0ELi2EEEEST_Li2ELi8ELi8ELb0ELi1ESS_ST_ST_Li2ELi8ELi8ELb0ELi1ELi1ELi1ENSH_IJLi1ELi32ELi1ELi8EEEELi4EEEDF16_DF16_S4_S4_S4_NS6_INS7_IJSD_SF_SF_NS_7UnMergeINS7_IJiNSA_IiLi8EEEEEELb0EEESF_EEENS7_IJSI_SJ_SK_SO_SN_EEENS7_IJSM_SN_SO_NSH_IJLi5ELi6EEEENSH_IJLi7EEEEEEENSH_IJLi5ELi7ELi6EEEElEES16_NS6_INS7_IJSD_SF_SF_NSW_INS7_IJiNSA_IiLi256EEEEEELb0EEENSW_INS7_IJiNSA_IiLi128EEEEEELb0EEEEEENS7_IJSI_SJ_SK_SN_SO_EEENS7_IJSM_SN_SO_S12_NSH_IJLi7ELi8EEEEEEENSH_IJLi5ELi6ELi7ELi8EEEElEENS_13TensorAdaptorINS7_IJNSW_ISC_Lb0EEES1K_NS_23Merge_v2_magic_divisionINS7_IJiiSB_SB_EEEEEEEENS7_IJSI_SJ_NSH_IJLi2ELi3ELi4ELi5EEEEEEENS7_IJNSH_IJLi2ELi4EEEENSH_IJLi3ELi5EEEENSH_IJLi6EEEEEEENSH_IJLi0ELi1EEEES1T_EELb1EEEvPKT0_S1Z_PT1_T2_T3_T4_T5_T6_T7_T8_
; %bb.0:
	s_endpgm
	.section	.rodata,"a",@progbits
	.p2align	6, 0x0
	.amdhsa_kernel _ZN2ck37kernel_gemm_xdl_waveletmodel_cshuffleINS_53GridwiseGemm_k0mk1_k0nk1_mn_xdl_waveletmodel_cshuffleIDF16_fDF16_DF16_NS_16tensor_operation12element_wise11PassThroughES4_S4_LNS_25InMemoryDataOperationEnumE0ENS_16TensorDescriptorINS_5TupleIJNS_5EmbedINS7_IJiiEEENS7_IJiNS_17integral_constantIiLi1EEEEEELb0EEENS_11PassThroughIiEESF_EEENS7_IJNS_8SequenceIJLi0EEEENSH_IJLi1EEEENSH_IJLi2EEEEEEENS7_IJNSH_IJLi1ELi2EEEENSH_IJLi3EEEENSH_IJLi4EEEEEEENSH_IJLi3ELi4EEEElEESR_SR_Li1ELi256ELi256ELi256ELi128ELi32ELi8ELi8ELi16ELi16ELi8ELi4ENSH_IJLi4ELi64ELi1EEEENSH_IJLi1ELi0ELi2EEEEST_Li2ELi8ELi8ELb0ELi1ESS_ST_ST_Li2ELi8ELi8ELb0ELi1ELi1ELi1ENSH_IJLi1ELi32ELi1ELi8EEEELi4EEEDF16_DF16_S4_S4_S4_NS6_INS7_IJSD_SF_SF_NS_7UnMergeINS7_IJiNSA_IiLi8EEEEEELb0EEESF_EEENS7_IJSI_SJ_SK_SO_SN_EEENS7_IJSM_SN_SO_NSH_IJLi5ELi6EEEENSH_IJLi7EEEEEEENSH_IJLi5ELi7ELi6EEEElEES16_NS6_INS7_IJSD_SF_SF_NSW_INS7_IJiNSA_IiLi256EEEEEELb0EEENSW_INS7_IJiNSA_IiLi128EEEEEELb0EEEEEENS7_IJSI_SJ_SK_SN_SO_EEENS7_IJSM_SN_SO_S12_NSH_IJLi7ELi8EEEEEEENSH_IJLi5ELi6ELi7ELi8EEEElEENS_13TensorAdaptorINS7_IJNSW_ISC_Lb0EEES1K_NS_23Merge_v2_magic_divisionINS7_IJiiSB_SB_EEEEEEEENS7_IJSI_SJ_NSH_IJLi2ELi3ELi4ELi5EEEEEEENS7_IJNSH_IJLi2ELi4EEEENSH_IJLi3ELi5EEEENSH_IJLi6EEEEEEENSH_IJLi0ELi1EEEES1T_EELb1EEEvPKT0_S1Z_PT1_T2_T3_T4_T5_T6_T7_T8_
		.amdhsa_group_segment_fixed_size 0
		.amdhsa_private_segment_fixed_size 0
		.amdhsa_kernarg_size 276
		.amdhsa_user_sgpr_count 2
		.amdhsa_user_sgpr_dispatch_ptr 0
		.amdhsa_user_sgpr_queue_ptr 0
		.amdhsa_user_sgpr_kernarg_segment_ptr 1
		.amdhsa_user_sgpr_dispatch_id 0
		.amdhsa_user_sgpr_private_segment_size 0
		.amdhsa_wavefront_size32 1
		.amdhsa_uses_dynamic_stack 0
		.amdhsa_enable_private_segment 0
		.amdhsa_system_sgpr_workgroup_id_x 1
		.amdhsa_system_sgpr_workgroup_id_y 0
		.amdhsa_system_sgpr_workgroup_id_z 0
		.amdhsa_system_sgpr_workgroup_info 0
		.amdhsa_system_vgpr_workitem_id 0
		.amdhsa_next_free_vgpr 1
		.amdhsa_next_free_sgpr 1
		.amdhsa_reserve_vcc 0
		.amdhsa_float_round_mode_32 0
		.amdhsa_float_round_mode_16_64 0
		.amdhsa_float_denorm_mode_32 3
		.amdhsa_float_denorm_mode_16_64 3
		.amdhsa_fp16_overflow 0
		.amdhsa_workgroup_processor_mode 1
		.amdhsa_memory_ordered 1
		.amdhsa_forward_progress 1
		.amdhsa_inst_pref_size 1
		.amdhsa_round_robin_scheduling 0
		.amdhsa_exception_fp_ieee_invalid_op 0
		.amdhsa_exception_fp_denorm_src 0
		.amdhsa_exception_fp_ieee_div_zero 0
		.amdhsa_exception_fp_ieee_overflow 0
		.amdhsa_exception_fp_ieee_underflow 0
		.amdhsa_exception_fp_ieee_inexact 0
		.amdhsa_exception_int_div_zero 0
	.end_amdhsa_kernel
	.section	.text._ZN2ck37kernel_gemm_xdl_waveletmodel_cshuffleINS_53GridwiseGemm_k0mk1_k0nk1_mn_xdl_waveletmodel_cshuffleIDF16_fDF16_DF16_NS_16tensor_operation12element_wise11PassThroughES4_S4_LNS_25InMemoryDataOperationEnumE0ENS_16TensorDescriptorINS_5TupleIJNS_5EmbedINS7_IJiiEEENS7_IJiNS_17integral_constantIiLi1EEEEEELb0EEENS_11PassThroughIiEESF_EEENS7_IJNS_8SequenceIJLi0EEEENSH_IJLi1EEEENSH_IJLi2EEEEEEENS7_IJNSH_IJLi1ELi2EEEENSH_IJLi3EEEENSH_IJLi4EEEEEEENSH_IJLi3ELi4EEEElEESR_SR_Li1ELi256ELi256ELi256ELi128ELi32ELi8ELi8ELi16ELi16ELi8ELi4ENSH_IJLi4ELi64ELi1EEEENSH_IJLi1ELi0ELi2EEEEST_Li2ELi8ELi8ELb0ELi1ESS_ST_ST_Li2ELi8ELi8ELb0ELi1ELi1ELi1ENSH_IJLi1ELi32ELi1ELi8EEEELi4EEEDF16_DF16_S4_S4_S4_NS6_INS7_IJSD_SF_SF_NS_7UnMergeINS7_IJiNSA_IiLi8EEEEEELb0EEESF_EEENS7_IJSI_SJ_SK_SO_SN_EEENS7_IJSM_SN_SO_NSH_IJLi5ELi6EEEENSH_IJLi7EEEEEEENSH_IJLi5ELi7ELi6EEEElEES16_NS6_INS7_IJSD_SF_SF_NSW_INS7_IJiNSA_IiLi256EEEEEELb0EEENSW_INS7_IJiNSA_IiLi128EEEEEELb0EEEEEENS7_IJSI_SJ_SK_SN_SO_EEENS7_IJSM_SN_SO_S12_NSH_IJLi7ELi8EEEEEEENSH_IJLi5ELi6ELi7ELi8EEEElEENS_13TensorAdaptorINS7_IJNSW_ISC_Lb0EEES1K_NS_23Merge_v2_magic_divisionINS7_IJiiSB_SB_EEEEEEEENS7_IJSI_SJ_NSH_IJLi2ELi3ELi4ELi5EEEEEEENS7_IJNSH_IJLi2ELi4EEEENSH_IJLi3ELi5EEEENSH_IJLi6EEEEEEENSH_IJLi0ELi1EEEES1T_EELb1EEEvPKT0_S1Z_PT1_T2_T3_T4_T5_T6_T7_T8_,"axG",@progbits,_ZN2ck37kernel_gemm_xdl_waveletmodel_cshuffleINS_53GridwiseGemm_k0mk1_k0nk1_mn_xdl_waveletmodel_cshuffleIDF16_fDF16_DF16_NS_16tensor_operation12element_wise11PassThroughES4_S4_LNS_25InMemoryDataOperationEnumE0ENS_16TensorDescriptorINS_5TupleIJNS_5EmbedINS7_IJiiEEENS7_IJiNS_17integral_constantIiLi1EEEEEELb0EEENS_11PassThroughIiEESF_EEENS7_IJNS_8SequenceIJLi0EEEENSH_IJLi1EEEENSH_IJLi2EEEEEEENS7_IJNSH_IJLi1ELi2EEEENSH_IJLi3EEEENSH_IJLi4EEEEEEENSH_IJLi3ELi4EEEElEESR_SR_Li1ELi256ELi256ELi256ELi128ELi32ELi8ELi8ELi16ELi16ELi8ELi4ENSH_IJLi4ELi64ELi1EEEENSH_IJLi1ELi0ELi2EEEEST_Li2ELi8ELi8ELb0ELi1ESS_ST_ST_Li2ELi8ELi8ELb0ELi1ELi1ELi1ENSH_IJLi1ELi32ELi1ELi8EEEELi4EEEDF16_DF16_S4_S4_S4_NS6_INS7_IJSD_SF_SF_NS_7UnMergeINS7_IJiNSA_IiLi8EEEEEELb0EEESF_EEENS7_IJSI_SJ_SK_SO_SN_EEENS7_IJSM_SN_SO_NSH_IJLi5ELi6EEEENSH_IJLi7EEEEEEENSH_IJLi5ELi7ELi6EEEElEES16_NS6_INS7_IJSD_SF_SF_NSW_INS7_IJiNSA_IiLi256EEEEEELb0EEENSW_INS7_IJiNSA_IiLi128EEEEEELb0EEEEEENS7_IJSI_SJ_SK_SN_SO_EEENS7_IJSM_SN_SO_S12_NSH_IJLi7ELi8EEEEEEENSH_IJLi5ELi6ELi7ELi8EEEElEENS_13TensorAdaptorINS7_IJNSW_ISC_Lb0EEES1K_NS_23Merge_v2_magic_divisionINS7_IJiiSB_SB_EEEEEEEENS7_IJSI_SJ_NSH_IJLi2ELi3ELi4ELi5EEEEEEENS7_IJNSH_IJLi2ELi4EEEENSH_IJLi3ELi5EEEENSH_IJLi6EEEEEEENSH_IJLi0ELi1EEEES1T_EELb1EEEvPKT0_S1Z_PT1_T2_T3_T4_T5_T6_T7_T8_,comdat
.Lfunc_end1:
	.size	_ZN2ck37kernel_gemm_xdl_waveletmodel_cshuffleINS_53GridwiseGemm_k0mk1_k0nk1_mn_xdl_waveletmodel_cshuffleIDF16_fDF16_DF16_NS_16tensor_operation12element_wise11PassThroughES4_S4_LNS_25InMemoryDataOperationEnumE0ENS_16TensorDescriptorINS_5TupleIJNS_5EmbedINS7_IJiiEEENS7_IJiNS_17integral_constantIiLi1EEEEEELb0EEENS_11PassThroughIiEESF_EEENS7_IJNS_8SequenceIJLi0EEEENSH_IJLi1EEEENSH_IJLi2EEEEEEENS7_IJNSH_IJLi1ELi2EEEENSH_IJLi3EEEENSH_IJLi4EEEEEEENSH_IJLi3ELi4EEEElEESR_SR_Li1ELi256ELi256ELi256ELi128ELi32ELi8ELi8ELi16ELi16ELi8ELi4ENSH_IJLi4ELi64ELi1EEEENSH_IJLi1ELi0ELi2EEEEST_Li2ELi8ELi8ELb0ELi1ESS_ST_ST_Li2ELi8ELi8ELb0ELi1ELi1ELi1ENSH_IJLi1ELi32ELi1ELi8EEEELi4EEEDF16_DF16_S4_S4_S4_NS6_INS7_IJSD_SF_SF_NS_7UnMergeINS7_IJiNSA_IiLi8EEEEEELb0EEESF_EEENS7_IJSI_SJ_SK_SO_SN_EEENS7_IJSM_SN_SO_NSH_IJLi5ELi6EEEENSH_IJLi7EEEEEEENSH_IJLi5ELi7ELi6EEEElEES16_NS6_INS7_IJSD_SF_SF_NSW_INS7_IJiNSA_IiLi256EEEEEELb0EEENSW_INS7_IJiNSA_IiLi128EEEEEELb0EEEEEENS7_IJSI_SJ_SK_SN_SO_EEENS7_IJSM_SN_SO_S12_NSH_IJLi7ELi8EEEEEEENSH_IJLi5ELi6ELi7ELi8EEEElEENS_13TensorAdaptorINS7_IJNSW_ISC_Lb0EEES1K_NS_23Merge_v2_magic_divisionINS7_IJiiSB_SB_EEEEEEEENS7_IJSI_SJ_NSH_IJLi2ELi3ELi4ELi5EEEEEEENS7_IJNSH_IJLi2ELi4EEEENSH_IJLi3ELi5EEEENSH_IJLi6EEEEEEENSH_IJLi0ELi1EEEES1T_EELb1EEEvPKT0_S1Z_PT1_T2_T3_T4_T5_T6_T7_T8_, .Lfunc_end1-_ZN2ck37kernel_gemm_xdl_waveletmodel_cshuffleINS_53GridwiseGemm_k0mk1_k0nk1_mn_xdl_waveletmodel_cshuffleIDF16_fDF16_DF16_NS_16tensor_operation12element_wise11PassThroughES4_S4_LNS_25InMemoryDataOperationEnumE0ENS_16TensorDescriptorINS_5TupleIJNS_5EmbedINS7_IJiiEEENS7_IJiNS_17integral_constantIiLi1EEEEEELb0EEENS_11PassThroughIiEESF_EEENS7_IJNS_8SequenceIJLi0EEEENSH_IJLi1EEEENSH_IJLi2EEEEEEENS7_IJNSH_IJLi1ELi2EEEENSH_IJLi3EEEENSH_IJLi4EEEEEEENSH_IJLi3ELi4EEEElEESR_SR_Li1ELi256ELi256ELi256ELi128ELi32ELi8ELi8ELi16ELi16ELi8ELi4ENSH_IJLi4ELi64ELi1EEEENSH_IJLi1ELi0ELi2EEEEST_Li2ELi8ELi8ELb0ELi1ESS_ST_ST_Li2ELi8ELi8ELb0ELi1ELi1ELi1ENSH_IJLi1ELi32ELi1ELi8EEEELi4EEEDF16_DF16_S4_S4_S4_NS6_INS7_IJSD_SF_SF_NS_7UnMergeINS7_IJiNSA_IiLi8EEEEEELb0EEESF_EEENS7_IJSI_SJ_SK_SO_SN_EEENS7_IJSM_SN_SO_NSH_IJLi5ELi6EEEENSH_IJLi7EEEEEEENSH_IJLi5ELi7ELi6EEEElEES16_NS6_INS7_IJSD_SF_SF_NSW_INS7_IJiNSA_IiLi256EEEEEELb0EEENSW_INS7_IJiNSA_IiLi128EEEEEELb0EEEEEENS7_IJSI_SJ_SK_SN_SO_EEENS7_IJSM_SN_SO_S12_NSH_IJLi7ELi8EEEEEEENSH_IJLi5ELi6ELi7ELi8EEEElEENS_13TensorAdaptorINS7_IJNSW_ISC_Lb0EEES1K_NS_23Merge_v2_magic_divisionINS7_IJiiSB_SB_EEEEEEEENS7_IJSI_SJ_NSH_IJLi2ELi3ELi4ELi5EEEEEEENS7_IJNSH_IJLi2ELi4EEEENSH_IJLi3ELi5EEEENSH_IJLi6EEEEEEENSH_IJLi0ELi1EEEES1T_EELb1EEEvPKT0_S1Z_PT1_T2_T3_T4_T5_T6_T7_T8_
                                        ; -- End function
	.set _ZN2ck37kernel_gemm_xdl_waveletmodel_cshuffleINS_53GridwiseGemm_k0mk1_k0nk1_mn_xdl_waveletmodel_cshuffleIDF16_fDF16_DF16_NS_16tensor_operation12element_wise11PassThroughES4_S4_LNS_25InMemoryDataOperationEnumE0ENS_16TensorDescriptorINS_5TupleIJNS_5EmbedINS7_IJiiEEENS7_IJiNS_17integral_constantIiLi1EEEEEELb0EEENS_11PassThroughIiEESF_EEENS7_IJNS_8SequenceIJLi0EEEENSH_IJLi1EEEENSH_IJLi2EEEEEEENS7_IJNSH_IJLi1ELi2EEEENSH_IJLi3EEEENSH_IJLi4EEEEEEENSH_IJLi3ELi4EEEElEESR_SR_Li1ELi256ELi256ELi256ELi128ELi32ELi8ELi8ELi16ELi16ELi8ELi4ENSH_IJLi4ELi64ELi1EEEENSH_IJLi1ELi0ELi2EEEEST_Li2ELi8ELi8ELb0ELi1ESS_ST_ST_Li2ELi8ELi8ELb0ELi1ELi1ELi1ENSH_IJLi1ELi32ELi1ELi8EEEELi4EEEDF16_DF16_S4_S4_S4_NS6_INS7_IJSD_SF_SF_NS_7UnMergeINS7_IJiNSA_IiLi8EEEEEELb0EEESF_EEENS7_IJSI_SJ_SK_SO_SN_EEENS7_IJSM_SN_SO_NSH_IJLi5ELi6EEEENSH_IJLi7EEEEEEENSH_IJLi5ELi7ELi6EEEElEES16_NS6_INS7_IJSD_SF_SF_NSW_INS7_IJiNSA_IiLi256EEEEEELb0EEENSW_INS7_IJiNSA_IiLi128EEEEEELb0EEEEEENS7_IJSI_SJ_SK_SN_SO_EEENS7_IJSM_SN_SO_S12_NSH_IJLi7ELi8EEEEEEENSH_IJLi5ELi6ELi7ELi8EEEElEENS_13TensorAdaptorINS7_IJNSW_ISC_Lb0EEES1K_NS_23Merge_v2_magic_divisionINS7_IJiiSB_SB_EEEEEEEENS7_IJSI_SJ_NSH_IJLi2ELi3ELi4ELi5EEEEEEENS7_IJNSH_IJLi2ELi4EEEENSH_IJLi3ELi5EEEENSH_IJLi6EEEEEEENSH_IJLi0ELi1EEEES1T_EELb1EEEvPKT0_S1Z_PT1_T2_T3_T4_T5_T6_T7_T8_.num_vgpr, 0
	.set _ZN2ck37kernel_gemm_xdl_waveletmodel_cshuffleINS_53GridwiseGemm_k0mk1_k0nk1_mn_xdl_waveletmodel_cshuffleIDF16_fDF16_DF16_NS_16tensor_operation12element_wise11PassThroughES4_S4_LNS_25InMemoryDataOperationEnumE0ENS_16TensorDescriptorINS_5TupleIJNS_5EmbedINS7_IJiiEEENS7_IJiNS_17integral_constantIiLi1EEEEEELb0EEENS_11PassThroughIiEESF_EEENS7_IJNS_8SequenceIJLi0EEEENSH_IJLi1EEEENSH_IJLi2EEEEEEENS7_IJNSH_IJLi1ELi2EEEENSH_IJLi3EEEENSH_IJLi4EEEEEEENSH_IJLi3ELi4EEEElEESR_SR_Li1ELi256ELi256ELi256ELi128ELi32ELi8ELi8ELi16ELi16ELi8ELi4ENSH_IJLi4ELi64ELi1EEEENSH_IJLi1ELi0ELi2EEEEST_Li2ELi8ELi8ELb0ELi1ESS_ST_ST_Li2ELi8ELi8ELb0ELi1ELi1ELi1ENSH_IJLi1ELi32ELi1ELi8EEEELi4EEEDF16_DF16_S4_S4_S4_NS6_INS7_IJSD_SF_SF_NS_7UnMergeINS7_IJiNSA_IiLi8EEEEEELb0EEESF_EEENS7_IJSI_SJ_SK_SO_SN_EEENS7_IJSM_SN_SO_NSH_IJLi5ELi6EEEENSH_IJLi7EEEEEEENSH_IJLi5ELi7ELi6EEEElEES16_NS6_INS7_IJSD_SF_SF_NSW_INS7_IJiNSA_IiLi256EEEEEELb0EEENSW_INS7_IJiNSA_IiLi128EEEEEELb0EEEEEENS7_IJSI_SJ_SK_SN_SO_EEENS7_IJSM_SN_SO_S12_NSH_IJLi7ELi8EEEEEEENSH_IJLi5ELi6ELi7ELi8EEEElEENS_13TensorAdaptorINS7_IJNSW_ISC_Lb0EEES1K_NS_23Merge_v2_magic_divisionINS7_IJiiSB_SB_EEEEEEEENS7_IJSI_SJ_NSH_IJLi2ELi3ELi4ELi5EEEEEEENS7_IJNSH_IJLi2ELi4EEEENSH_IJLi3ELi5EEEENSH_IJLi6EEEEEEENSH_IJLi0ELi1EEEES1T_EELb1EEEvPKT0_S1Z_PT1_T2_T3_T4_T5_T6_T7_T8_.num_agpr, 0
	.set _ZN2ck37kernel_gemm_xdl_waveletmodel_cshuffleINS_53GridwiseGemm_k0mk1_k0nk1_mn_xdl_waveletmodel_cshuffleIDF16_fDF16_DF16_NS_16tensor_operation12element_wise11PassThroughES4_S4_LNS_25InMemoryDataOperationEnumE0ENS_16TensorDescriptorINS_5TupleIJNS_5EmbedINS7_IJiiEEENS7_IJiNS_17integral_constantIiLi1EEEEEELb0EEENS_11PassThroughIiEESF_EEENS7_IJNS_8SequenceIJLi0EEEENSH_IJLi1EEEENSH_IJLi2EEEEEEENS7_IJNSH_IJLi1ELi2EEEENSH_IJLi3EEEENSH_IJLi4EEEEEEENSH_IJLi3ELi4EEEElEESR_SR_Li1ELi256ELi256ELi256ELi128ELi32ELi8ELi8ELi16ELi16ELi8ELi4ENSH_IJLi4ELi64ELi1EEEENSH_IJLi1ELi0ELi2EEEEST_Li2ELi8ELi8ELb0ELi1ESS_ST_ST_Li2ELi8ELi8ELb0ELi1ELi1ELi1ENSH_IJLi1ELi32ELi1ELi8EEEELi4EEEDF16_DF16_S4_S4_S4_NS6_INS7_IJSD_SF_SF_NS_7UnMergeINS7_IJiNSA_IiLi8EEEEEELb0EEESF_EEENS7_IJSI_SJ_SK_SO_SN_EEENS7_IJSM_SN_SO_NSH_IJLi5ELi6EEEENSH_IJLi7EEEEEEENSH_IJLi5ELi7ELi6EEEElEES16_NS6_INS7_IJSD_SF_SF_NSW_INS7_IJiNSA_IiLi256EEEEEELb0EEENSW_INS7_IJiNSA_IiLi128EEEEEELb0EEEEEENS7_IJSI_SJ_SK_SN_SO_EEENS7_IJSM_SN_SO_S12_NSH_IJLi7ELi8EEEEEEENSH_IJLi5ELi6ELi7ELi8EEEElEENS_13TensorAdaptorINS7_IJNSW_ISC_Lb0EEES1K_NS_23Merge_v2_magic_divisionINS7_IJiiSB_SB_EEEEEEEENS7_IJSI_SJ_NSH_IJLi2ELi3ELi4ELi5EEEEEEENS7_IJNSH_IJLi2ELi4EEEENSH_IJLi3ELi5EEEENSH_IJLi6EEEEEEENSH_IJLi0ELi1EEEES1T_EELb1EEEvPKT0_S1Z_PT1_T2_T3_T4_T5_T6_T7_T8_.numbered_sgpr, 0
	.set _ZN2ck37kernel_gemm_xdl_waveletmodel_cshuffleINS_53GridwiseGemm_k0mk1_k0nk1_mn_xdl_waveletmodel_cshuffleIDF16_fDF16_DF16_NS_16tensor_operation12element_wise11PassThroughES4_S4_LNS_25InMemoryDataOperationEnumE0ENS_16TensorDescriptorINS_5TupleIJNS_5EmbedINS7_IJiiEEENS7_IJiNS_17integral_constantIiLi1EEEEEELb0EEENS_11PassThroughIiEESF_EEENS7_IJNS_8SequenceIJLi0EEEENSH_IJLi1EEEENSH_IJLi2EEEEEEENS7_IJNSH_IJLi1ELi2EEEENSH_IJLi3EEEENSH_IJLi4EEEEEEENSH_IJLi3ELi4EEEElEESR_SR_Li1ELi256ELi256ELi256ELi128ELi32ELi8ELi8ELi16ELi16ELi8ELi4ENSH_IJLi4ELi64ELi1EEEENSH_IJLi1ELi0ELi2EEEEST_Li2ELi8ELi8ELb0ELi1ESS_ST_ST_Li2ELi8ELi8ELb0ELi1ELi1ELi1ENSH_IJLi1ELi32ELi1ELi8EEEELi4EEEDF16_DF16_S4_S4_S4_NS6_INS7_IJSD_SF_SF_NS_7UnMergeINS7_IJiNSA_IiLi8EEEEEELb0EEESF_EEENS7_IJSI_SJ_SK_SO_SN_EEENS7_IJSM_SN_SO_NSH_IJLi5ELi6EEEENSH_IJLi7EEEEEEENSH_IJLi5ELi7ELi6EEEElEES16_NS6_INS7_IJSD_SF_SF_NSW_INS7_IJiNSA_IiLi256EEEEEELb0EEENSW_INS7_IJiNSA_IiLi128EEEEEELb0EEEEEENS7_IJSI_SJ_SK_SN_SO_EEENS7_IJSM_SN_SO_S12_NSH_IJLi7ELi8EEEEEEENSH_IJLi5ELi6ELi7ELi8EEEElEENS_13TensorAdaptorINS7_IJNSW_ISC_Lb0EEES1K_NS_23Merge_v2_magic_divisionINS7_IJiiSB_SB_EEEEEEEENS7_IJSI_SJ_NSH_IJLi2ELi3ELi4ELi5EEEEEEENS7_IJNSH_IJLi2ELi4EEEENSH_IJLi3ELi5EEEENSH_IJLi6EEEEEEENSH_IJLi0ELi1EEEES1T_EELb1EEEvPKT0_S1Z_PT1_T2_T3_T4_T5_T6_T7_T8_.num_named_barrier, 0
	.set _ZN2ck37kernel_gemm_xdl_waveletmodel_cshuffleINS_53GridwiseGemm_k0mk1_k0nk1_mn_xdl_waveletmodel_cshuffleIDF16_fDF16_DF16_NS_16tensor_operation12element_wise11PassThroughES4_S4_LNS_25InMemoryDataOperationEnumE0ENS_16TensorDescriptorINS_5TupleIJNS_5EmbedINS7_IJiiEEENS7_IJiNS_17integral_constantIiLi1EEEEEELb0EEENS_11PassThroughIiEESF_EEENS7_IJNS_8SequenceIJLi0EEEENSH_IJLi1EEEENSH_IJLi2EEEEEEENS7_IJNSH_IJLi1ELi2EEEENSH_IJLi3EEEENSH_IJLi4EEEEEEENSH_IJLi3ELi4EEEElEESR_SR_Li1ELi256ELi256ELi256ELi128ELi32ELi8ELi8ELi16ELi16ELi8ELi4ENSH_IJLi4ELi64ELi1EEEENSH_IJLi1ELi0ELi2EEEEST_Li2ELi8ELi8ELb0ELi1ESS_ST_ST_Li2ELi8ELi8ELb0ELi1ELi1ELi1ENSH_IJLi1ELi32ELi1ELi8EEEELi4EEEDF16_DF16_S4_S4_S4_NS6_INS7_IJSD_SF_SF_NS_7UnMergeINS7_IJiNSA_IiLi8EEEEEELb0EEESF_EEENS7_IJSI_SJ_SK_SO_SN_EEENS7_IJSM_SN_SO_NSH_IJLi5ELi6EEEENSH_IJLi7EEEEEEENSH_IJLi5ELi7ELi6EEEElEES16_NS6_INS7_IJSD_SF_SF_NSW_INS7_IJiNSA_IiLi256EEEEEELb0EEENSW_INS7_IJiNSA_IiLi128EEEEEELb0EEEEEENS7_IJSI_SJ_SK_SN_SO_EEENS7_IJSM_SN_SO_S12_NSH_IJLi7ELi8EEEEEEENSH_IJLi5ELi6ELi7ELi8EEEElEENS_13TensorAdaptorINS7_IJNSW_ISC_Lb0EEES1K_NS_23Merge_v2_magic_divisionINS7_IJiiSB_SB_EEEEEEEENS7_IJSI_SJ_NSH_IJLi2ELi3ELi4ELi5EEEEEEENS7_IJNSH_IJLi2ELi4EEEENSH_IJLi3ELi5EEEENSH_IJLi6EEEEEEENSH_IJLi0ELi1EEEES1T_EELb1EEEvPKT0_S1Z_PT1_T2_T3_T4_T5_T6_T7_T8_.private_seg_size, 0
	.set _ZN2ck37kernel_gemm_xdl_waveletmodel_cshuffleINS_53GridwiseGemm_k0mk1_k0nk1_mn_xdl_waveletmodel_cshuffleIDF16_fDF16_DF16_NS_16tensor_operation12element_wise11PassThroughES4_S4_LNS_25InMemoryDataOperationEnumE0ENS_16TensorDescriptorINS_5TupleIJNS_5EmbedINS7_IJiiEEENS7_IJiNS_17integral_constantIiLi1EEEEEELb0EEENS_11PassThroughIiEESF_EEENS7_IJNS_8SequenceIJLi0EEEENSH_IJLi1EEEENSH_IJLi2EEEEEEENS7_IJNSH_IJLi1ELi2EEEENSH_IJLi3EEEENSH_IJLi4EEEEEEENSH_IJLi3ELi4EEEElEESR_SR_Li1ELi256ELi256ELi256ELi128ELi32ELi8ELi8ELi16ELi16ELi8ELi4ENSH_IJLi4ELi64ELi1EEEENSH_IJLi1ELi0ELi2EEEEST_Li2ELi8ELi8ELb0ELi1ESS_ST_ST_Li2ELi8ELi8ELb0ELi1ELi1ELi1ENSH_IJLi1ELi32ELi1ELi8EEEELi4EEEDF16_DF16_S4_S4_S4_NS6_INS7_IJSD_SF_SF_NS_7UnMergeINS7_IJiNSA_IiLi8EEEEEELb0EEESF_EEENS7_IJSI_SJ_SK_SO_SN_EEENS7_IJSM_SN_SO_NSH_IJLi5ELi6EEEENSH_IJLi7EEEEEEENSH_IJLi5ELi7ELi6EEEElEES16_NS6_INS7_IJSD_SF_SF_NSW_INS7_IJiNSA_IiLi256EEEEEELb0EEENSW_INS7_IJiNSA_IiLi128EEEEEELb0EEEEEENS7_IJSI_SJ_SK_SN_SO_EEENS7_IJSM_SN_SO_S12_NSH_IJLi7ELi8EEEEEEENSH_IJLi5ELi6ELi7ELi8EEEElEENS_13TensorAdaptorINS7_IJNSW_ISC_Lb0EEES1K_NS_23Merge_v2_magic_divisionINS7_IJiiSB_SB_EEEEEEEENS7_IJSI_SJ_NSH_IJLi2ELi3ELi4ELi5EEEEEEENS7_IJNSH_IJLi2ELi4EEEENSH_IJLi3ELi5EEEENSH_IJLi6EEEEEEENSH_IJLi0ELi1EEEES1T_EELb1EEEvPKT0_S1Z_PT1_T2_T3_T4_T5_T6_T7_T8_.uses_vcc, 0
	.set _ZN2ck37kernel_gemm_xdl_waveletmodel_cshuffleINS_53GridwiseGemm_k0mk1_k0nk1_mn_xdl_waveletmodel_cshuffleIDF16_fDF16_DF16_NS_16tensor_operation12element_wise11PassThroughES4_S4_LNS_25InMemoryDataOperationEnumE0ENS_16TensorDescriptorINS_5TupleIJNS_5EmbedINS7_IJiiEEENS7_IJiNS_17integral_constantIiLi1EEEEEELb0EEENS_11PassThroughIiEESF_EEENS7_IJNS_8SequenceIJLi0EEEENSH_IJLi1EEEENSH_IJLi2EEEEEEENS7_IJNSH_IJLi1ELi2EEEENSH_IJLi3EEEENSH_IJLi4EEEEEEENSH_IJLi3ELi4EEEElEESR_SR_Li1ELi256ELi256ELi256ELi128ELi32ELi8ELi8ELi16ELi16ELi8ELi4ENSH_IJLi4ELi64ELi1EEEENSH_IJLi1ELi0ELi2EEEEST_Li2ELi8ELi8ELb0ELi1ESS_ST_ST_Li2ELi8ELi8ELb0ELi1ELi1ELi1ENSH_IJLi1ELi32ELi1ELi8EEEELi4EEEDF16_DF16_S4_S4_S4_NS6_INS7_IJSD_SF_SF_NS_7UnMergeINS7_IJiNSA_IiLi8EEEEEELb0EEESF_EEENS7_IJSI_SJ_SK_SO_SN_EEENS7_IJSM_SN_SO_NSH_IJLi5ELi6EEEENSH_IJLi7EEEEEEENSH_IJLi5ELi7ELi6EEEElEES16_NS6_INS7_IJSD_SF_SF_NSW_INS7_IJiNSA_IiLi256EEEEEELb0EEENSW_INS7_IJiNSA_IiLi128EEEEEELb0EEEEEENS7_IJSI_SJ_SK_SN_SO_EEENS7_IJSM_SN_SO_S12_NSH_IJLi7ELi8EEEEEEENSH_IJLi5ELi6ELi7ELi8EEEElEENS_13TensorAdaptorINS7_IJNSW_ISC_Lb0EEES1K_NS_23Merge_v2_magic_divisionINS7_IJiiSB_SB_EEEEEEEENS7_IJSI_SJ_NSH_IJLi2ELi3ELi4ELi5EEEEEEENS7_IJNSH_IJLi2ELi4EEEENSH_IJLi3ELi5EEEENSH_IJLi6EEEEEEENSH_IJLi0ELi1EEEES1T_EELb1EEEvPKT0_S1Z_PT1_T2_T3_T4_T5_T6_T7_T8_.uses_flat_scratch, 0
	.set _ZN2ck37kernel_gemm_xdl_waveletmodel_cshuffleINS_53GridwiseGemm_k0mk1_k0nk1_mn_xdl_waveletmodel_cshuffleIDF16_fDF16_DF16_NS_16tensor_operation12element_wise11PassThroughES4_S4_LNS_25InMemoryDataOperationEnumE0ENS_16TensorDescriptorINS_5TupleIJNS_5EmbedINS7_IJiiEEENS7_IJiNS_17integral_constantIiLi1EEEEEELb0EEENS_11PassThroughIiEESF_EEENS7_IJNS_8SequenceIJLi0EEEENSH_IJLi1EEEENSH_IJLi2EEEEEEENS7_IJNSH_IJLi1ELi2EEEENSH_IJLi3EEEENSH_IJLi4EEEEEEENSH_IJLi3ELi4EEEElEESR_SR_Li1ELi256ELi256ELi256ELi128ELi32ELi8ELi8ELi16ELi16ELi8ELi4ENSH_IJLi4ELi64ELi1EEEENSH_IJLi1ELi0ELi2EEEEST_Li2ELi8ELi8ELb0ELi1ESS_ST_ST_Li2ELi8ELi8ELb0ELi1ELi1ELi1ENSH_IJLi1ELi32ELi1ELi8EEEELi4EEEDF16_DF16_S4_S4_S4_NS6_INS7_IJSD_SF_SF_NS_7UnMergeINS7_IJiNSA_IiLi8EEEEEELb0EEESF_EEENS7_IJSI_SJ_SK_SO_SN_EEENS7_IJSM_SN_SO_NSH_IJLi5ELi6EEEENSH_IJLi7EEEEEEENSH_IJLi5ELi7ELi6EEEElEES16_NS6_INS7_IJSD_SF_SF_NSW_INS7_IJiNSA_IiLi256EEEEEELb0EEENSW_INS7_IJiNSA_IiLi128EEEEEELb0EEEEEENS7_IJSI_SJ_SK_SN_SO_EEENS7_IJSM_SN_SO_S12_NSH_IJLi7ELi8EEEEEEENSH_IJLi5ELi6ELi7ELi8EEEElEENS_13TensorAdaptorINS7_IJNSW_ISC_Lb0EEES1K_NS_23Merge_v2_magic_divisionINS7_IJiiSB_SB_EEEEEEEENS7_IJSI_SJ_NSH_IJLi2ELi3ELi4ELi5EEEEEEENS7_IJNSH_IJLi2ELi4EEEENSH_IJLi3ELi5EEEENSH_IJLi6EEEEEEENSH_IJLi0ELi1EEEES1T_EELb1EEEvPKT0_S1Z_PT1_T2_T3_T4_T5_T6_T7_T8_.has_dyn_sized_stack, 0
	.set _ZN2ck37kernel_gemm_xdl_waveletmodel_cshuffleINS_53GridwiseGemm_k0mk1_k0nk1_mn_xdl_waveletmodel_cshuffleIDF16_fDF16_DF16_NS_16tensor_operation12element_wise11PassThroughES4_S4_LNS_25InMemoryDataOperationEnumE0ENS_16TensorDescriptorINS_5TupleIJNS_5EmbedINS7_IJiiEEENS7_IJiNS_17integral_constantIiLi1EEEEEELb0EEENS_11PassThroughIiEESF_EEENS7_IJNS_8SequenceIJLi0EEEENSH_IJLi1EEEENSH_IJLi2EEEEEEENS7_IJNSH_IJLi1ELi2EEEENSH_IJLi3EEEENSH_IJLi4EEEEEEENSH_IJLi3ELi4EEEElEESR_SR_Li1ELi256ELi256ELi256ELi128ELi32ELi8ELi8ELi16ELi16ELi8ELi4ENSH_IJLi4ELi64ELi1EEEENSH_IJLi1ELi0ELi2EEEEST_Li2ELi8ELi8ELb0ELi1ESS_ST_ST_Li2ELi8ELi8ELb0ELi1ELi1ELi1ENSH_IJLi1ELi32ELi1ELi8EEEELi4EEEDF16_DF16_S4_S4_S4_NS6_INS7_IJSD_SF_SF_NS_7UnMergeINS7_IJiNSA_IiLi8EEEEEELb0EEESF_EEENS7_IJSI_SJ_SK_SO_SN_EEENS7_IJSM_SN_SO_NSH_IJLi5ELi6EEEENSH_IJLi7EEEEEEENSH_IJLi5ELi7ELi6EEEElEES16_NS6_INS7_IJSD_SF_SF_NSW_INS7_IJiNSA_IiLi256EEEEEELb0EEENSW_INS7_IJiNSA_IiLi128EEEEEELb0EEEEEENS7_IJSI_SJ_SK_SN_SO_EEENS7_IJSM_SN_SO_S12_NSH_IJLi7ELi8EEEEEEENSH_IJLi5ELi6ELi7ELi8EEEElEENS_13TensorAdaptorINS7_IJNSW_ISC_Lb0EEES1K_NS_23Merge_v2_magic_divisionINS7_IJiiSB_SB_EEEEEEEENS7_IJSI_SJ_NSH_IJLi2ELi3ELi4ELi5EEEEEEENS7_IJNSH_IJLi2ELi4EEEENSH_IJLi3ELi5EEEENSH_IJLi6EEEEEEENSH_IJLi0ELi1EEEES1T_EELb1EEEvPKT0_S1Z_PT1_T2_T3_T4_T5_T6_T7_T8_.has_recursion, 0
	.set _ZN2ck37kernel_gemm_xdl_waveletmodel_cshuffleINS_53GridwiseGemm_k0mk1_k0nk1_mn_xdl_waveletmodel_cshuffleIDF16_fDF16_DF16_NS_16tensor_operation12element_wise11PassThroughES4_S4_LNS_25InMemoryDataOperationEnumE0ENS_16TensorDescriptorINS_5TupleIJNS_5EmbedINS7_IJiiEEENS7_IJiNS_17integral_constantIiLi1EEEEEELb0EEENS_11PassThroughIiEESF_EEENS7_IJNS_8SequenceIJLi0EEEENSH_IJLi1EEEENSH_IJLi2EEEEEEENS7_IJNSH_IJLi1ELi2EEEENSH_IJLi3EEEENSH_IJLi4EEEEEEENSH_IJLi3ELi4EEEElEESR_SR_Li1ELi256ELi256ELi256ELi128ELi32ELi8ELi8ELi16ELi16ELi8ELi4ENSH_IJLi4ELi64ELi1EEEENSH_IJLi1ELi0ELi2EEEEST_Li2ELi8ELi8ELb0ELi1ESS_ST_ST_Li2ELi8ELi8ELb0ELi1ELi1ELi1ENSH_IJLi1ELi32ELi1ELi8EEEELi4EEEDF16_DF16_S4_S4_S4_NS6_INS7_IJSD_SF_SF_NS_7UnMergeINS7_IJiNSA_IiLi8EEEEEELb0EEESF_EEENS7_IJSI_SJ_SK_SO_SN_EEENS7_IJSM_SN_SO_NSH_IJLi5ELi6EEEENSH_IJLi7EEEEEEENSH_IJLi5ELi7ELi6EEEElEES16_NS6_INS7_IJSD_SF_SF_NSW_INS7_IJiNSA_IiLi256EEEEEELb0EEENSW_INS7_IJiNSA_IiLi128EEEEEELb0EEEEEENS7_IJSI_SJ_SK_SN_SO_EEENS7_IJSM_SN_SO_S12_NSH_IJLi7ELi8EEEEEEENSH_IJLi5ELi6ELi7ELi8EEEElEENS_13TensorAdaptorINS7_IJNSW_ISC_Lb0EEES1K_NS_23Merge_v2_magic_divisionINS7_IJiiSB_SB_EEEEEEEENS7_IJSI_SJ_NSH_IJLi2ELi3ELi4ELi5EEEEEEENS7_IJNSH_IJLi2ELi4EEEENSH_IJLi3ELi5EEEENSH_IJLi6EEEEEEENSH_IJLi0ELi1EEEES1T_EELb1EEEvPKT0_S1Z_PT1_T2_T3_T4_T5_T6_T7_T8_.has_indirect_call, 0
	.section	.AMDGPU.csdata,"",@progbits
; Kernel info:
; codeLenInByte = 4
; TotalNumSgprs: 0
; NumVgprs: 0
; ScratchSize: 0
; MemoryBound: 0
; FloatMode: 240
; IeeeMode: 1
; LDSByteSize: 0 bytes/workgroup (compile time only)
; SGPRBlocks: 0
; VGPRBlocks: 0
; NumSGPRsForWavesPerEU: 1
; NumVGPRsForWavesPerEU: 1
; Occupancy: 16
; WaveLimiterHint : 0
; COMPUTE_PGM_RSRC2:SCRATCH_EN: 0
; COMPUTE_PGM_RSRC2:USER_SGPR: 2
; COMPUTE_PGM_RSRC2:TRAP_HANDLER: 0
; COMPUTE_PGM_RSRC2:TGID_X_EN: 1
; COMPUTE_PGM_RSRC2:TGID_Y_EN: 0
; COMPUTE_PGM_RSRC2:TGID_Z_EN: 0
; COMPUTE_PGM_RSRC2:TIDIG_COMP_CNT: 0
	.section	.text._ZN2ck37kernel_gemm_xdl_waveletmodel_cshuffleINS_53GridwiseGemm_k0mk1_k0nk1_mn_xdl_waveletmodel_cshuffleIDF16_fDF16_DF16_NS_16tensor_operation12element_wise11PassThroughES4_S4_LNS_25InMemoryDataOperationEnumE0ENS_16TensorDescriptorINS_5TupleIJNS_5EmbedINS7_IJiiEEENS7_IJiNS_17integral_constantIiLi1EEEEEELb0EEENS_11PassThroughIiEESF_EEENS7_IJNS_8SequenceIJLi0EEEENSH_IJLi1EEEENSH_IJLi2EEEEEEENS7_IJNSH_IJLi1ELi2EEEENSH_IJLi3EEEENSH_IJLi4EEEEEEENSH_IJLi3ELi4EEEElEESR_SR_Li1ELi256ELi256ELi256ELi128ELi32ELi8ELi8ELi16ELi16ELi8ELi4ENSH_IJLi4ELi64ELi1EEEENSH_IJLi1ELi0ELi2EEEEST_Li2ELi8ELi8ELb0ELi1ESS_ST_ST_Li2ELi8ELi8ELb0ELi1ELi1ELi1ENSH_IJLi1ELi32ELi1ELi8EEEELi4EEEDF16_DF16_S4_S4_S4_NS6_INS7_IJSD_SF_SF_NS_7UnMergeINS7_IJiNSA_IiLi8EEEEEELb0EEESF_EEENS7_IJSI_SJ_SK_SO_SN_EEENS7_IJSM_SN_SO_NSH_IJLi5ELi6EEEENSH_IJLi7EEEEEEENSH_IJLi5ELi7ELi6EEEElEES16_NS6_INS7_IJSD_SF_SF_NSW_INS7_IJiNSA_IiLi256EEEEEELb0EEENSW_INS7_IJiNSA_IiLi128EEEEEELb0EEEEEENS7_IJSI_SJ_SK_SN_SO_EEENS7_IJSM_SN_SO_S12_NSH_IJLi7ELi8EEEEEEENSH_IJLi5ELi6ELi7ELi8EEEElEENS_13TensorAdaptorINS7_IJNSW_ISC_Lb0EEES1K_NS_23Merge_v2_magic_divisionINS7_IJiiSB_SB_EEEEEEEENS7_IJSI_SJ_NSH_IJLi2ELi3ELi4ELi5EEEEEEENS7_IJNSH_IJLi2ELi4EEEENSH_IJLi3ELi5EEEENSH_IJLi6EEEEEEENSH_IJLi0ELi1EEEES1T_EELb0EEEvPKT0_S1Z_PT1_T2_T3_T4_T5_T6_T7_T8_,"axG",@progbits,_ZN2ck37kernel_gemm_xdl_waveletmodel_cshuffleINS_53GridwiseGemm_k0mk1_k0nk1_mn_xdl_waveletmodel_cshuffleIDF16_fDF16_DF16_NS_16tensor_operation12element_wise11PassThroughES4_S4_LNS_25InMemoryDataOperationEnumE0ENS_16TensorDescriptorINS_5TupleIJNS_5EmbedINS7_IJiiEEENS7_IJiNS_17integral_constantIiLi1EEEEEELb0EEENS_11PassThroughIiEESF_EEENS7_IJNS_8SequenceIJLi0EEEENSH_IJLi1EEEENSH_IJLi2EEEEEEENS7_IJNSH_IJLi1ELi2EEEENSH_IJLi3EEEENSH_IJLi4EEEEEEENSH_IJLi3ELi4EEEElEESR_SR_Li1ELi256ELi256ELi256ELi128ELi32ELi8ELi8ELi16ELi16ELi8ELi4ENSH_IJLi4ELi64ELi1EEEENSH_IJLi1ELi0ELi2EEEEST_Li2ELi8ELi8ELb0ELi1ESS_ST_ST_Li2ELi8ELi8ELb0ELi1ELi1ELi1ENSH_IJLi1ELi32ELi1ELi8EEEELi4EEEDF16_DF16_S4_S4_S4_NS6_INS7_IJSD_SF_SF_NS_7UnMergeINS7_IJiNSA_IiLi8EEEEEELb0EEESF_EEENS7_IJSI_SJ_SK_SO_SN_EEENS7_IJSM_SN_SO_NSH_IJLi5ELi6EEEENSH_IJLi7EEEEEEENSH_IJLi5ELi7ELi6EEEElEES16_NS6_INS7_IJSD_SF_SF_NSW_INS7_IJiNSA_IiLi256EEEEEELb0EEENSW_INS7_IJiNSA_IiLi128EEEEEELb0EEEEEENS7_IJSI_SJ_SK_SN_SO_EEENS7_IJSM_SN_SO_S12_NSH_IJLi7ELi8EEEEEEENSH_IJLi5ELi6ELi7ELi8EEEElEENS_13TensorAdaptorINS7_IJNSW_ISC_Lb0EEES1K_NS_23Merge_v2_magic_divisionINS7_IJiiSB_SB_EEEEEEEENS7_IJSI_SJ_NSH_IJLi2ELi3ELi4ELi5EEEEEEENS7_IJNSH_IJLi2ELi4EEEENSH_IJLi3ELi5EEEENSH_IJLi6EEEEEEENSH_IJLi0ELi1EEEES1T_EELb0EEEvPKT0_S1Z_PT1_T2_T3_T4_T5_T6_T7_T8_,comdat
	.protected	_ZN2ck37kernel_gemm_xdl_waveletmodel_cshuffleINS_53GridwiseGemm_k0mk1_k0nk1_mn_xdl_waveletmodel_cshuffleIDF16_fDF16_DF16_NS_16tensor_operation12element_wise11PassThroughES4_S4_LNS_25InMemoryDataOperationEnumE0ENS_16TensorDescriptorINS_5TupleIJNS_5EmbedINS7_IJiiEEENS7_IJiNS_17integral_constantIiLi1EEEEEELb0EEENS_11PassThroughIiEESF_EEENS7_IJNS_8SequenceIJLi0EEEENSH_IJLi1EEEENSH_IJLi2EEEEEEENS7_IJNSH_IJLi1ELi2EEEENSH_IJLi3EEEENSH_IJLi4EEEEEEENSH_IJLi3ELi4EEEElEESR_SR_Li1ELi256ELi256ELi256ELi128ELi32ELi8ELi8ELi16ELi16ELi8ELi4ENSH_IJLi4ELi64ELi1EEEENSH_IJLi1ELi0ELi2EEEEST_Li2ELi8ELi8ELb0ELi1ESS_ST_ST_Li2ELi8ELi8ELb0ELi1ELi1ELi1ENSH_IJLi1ELi32ELi1ELi8EEEELi4EEEDF16_DF16_S4_S4_S4_NS6_INS7_IJSD_SF_SF_NS_7UnMergeINS7_IJiNSA_IiLi8EEEEEELb0EEESF_EEENS7_IJSI_SJ_SK_SO_SN_EEENS7_IJSM_SN_SO_NSH_IJLi5ELi6EEEENSH_IJLi7EEEEEEENSH_IJLi5ELi7ELi6EEEElEES16_NS6_INS7_IJSD_SF_SF_NSW_INS7_IJiNSA_IiLi256EEEEEELb0EEENSW_INS7_IJiNSA_IiLi128EEEEEELb0EEEEEENS7_IJSI_SJ_SK_SN_SO_EEENS7_IJSM_SN_SO_S12_NSH_IJLi7ELi8EEEEEEENSH_IJLi5ELi6ELi7ELi8EEEElEENS_13TensorAdaptorINS7_IJNSW_ISC_Lb0EEES1K_NS_23Merge_v2_magic_divisionINS7_IJiiSB_SB_EEEEEEEENS7_IJSI_SJ_NSH_IJLi2ELi3ELi4ELi5EEEEEEENS7_IJNSH_IJLi2ELi4EEEENSH_IJLi3ELi5EEEENSH_IJLi6EEEEEEENSH_IJLi0ELi1EEEES1T_EELb0EEEvPKT0_S1Z_PT1_T2_T3_T4_T5_T6_T7_T8_ ; -- Begin function _ZN2ck37kernel_gemm_xdl_waveletmodel_cshuffleINS_53GridwiseGemm_k0mk1_k0nk1_mn_xdl_waveletmodel_cshuffleIDF16_fDF16_DF16_NS_16tensor_operation12element_wise11PassThroughES4_S4_LNS_25InMemoryDataOperationEnumE0ENS_16TensorDescriptorINS_5TupleIJNS_5EmbedINS7_IJiiEEENS7_IJiNS_17integral_constantIiLi1EEEEEELb0EEENS_11PassThroughIiEESF_EEENS7_IJNS_8SequenceIJLi0EEEENSH_IJLi1EEEENSH_IJLi2EEEEEEENS7_IJNSH_IJLi1ELi2EEEENSH_IJLi3EEEENSH_IJLi4EEEEEEENSH_IJLi3ELi4EEEElEESR_SR_Li1ELi256ELi256ELi256ELi128ELi32ELi8ELi8ELi16ELi16ELi8ELi4ENSH_IJLi4ELi64ELi1EEEENSH_IJLi1ELi0ELi2EEEEST_Li2ELi8ELi8ELb0ELi1ESS_ST_ST_Li2ELi8ELi8ELb0ELi1ELi1ELi1ENSH_IJLi1ELi32ELi1ELi8EEEELi4EEEDF16_DF16_S4_S4_S4_NS6_INS7_IJSD_SF_SF_NS_7UnMergeINS7_IJiNSA_IiLi8EEEEEELb0EEESF_EEENS7_IJSI_SJ_SK_SO_SN_EEENS7_IJSM_SN_SO_NSH_IJLi5ELi6EEEENSH_IJLi7EEEEEEENSH_IJLi5ELi7ELi6EEEElEES16_NS6_INS7_IJSD_SF_SF_NSW_INS7_IJiNSA_IiLi256EEEEEELb0EEENSW_INS7_IJiNSA_IiLi128EEEEEELb0EEEEEENS7_IJSI_SJ_SK_SN_SO_EEENS7_IJSM_SN_SO_S12_NSH_IJLi7ELi8EEEEEEENSH_IJLi5ELi6ELi7ELi8EEEElEENS_13TensorAdaptorINS7_IJNSW_ISC_Lb0EEES1K_NS_23Merge_v2_magic_divisionINS7_IJiiSB_SB_EEEEEEEENS7_IJSI_SJ_NSH_IJLi2ELi3ELi4ELi5EEEEEEENS7_IJNSH_IJLi2ELi4EEEENSH_IJLi3ELi5EEEENSH_IJLi6EEEEEEENSH_IJLi0ELi1EEEES1T_EELb0EEEvPKT0_S1Z_PT1_T2_T3_T4_T5_T6_T7_T8_
	.globl	_ZN2ck37kernel_gemm_xdl_waveletmodel_cshuffleINS_53GridwiseGemm_k0mk1_k0nk1_mn_xdl_waveletmodel_cshuffleIDF16_fDF16_DF16_NS_16tensor_operation12element_wise11PassThroughES4_S4_LNS_25InMemoryDataOperationEnumE0ENS_16TensorDescriptorINS_5TupleIJNS_5EmbedINS7_IJiiEEENS7_IJiNS_17integral_constantIiLi1EEEEEELb0EEENS_11PassThroughIiEESF_EEENS7_IJNS_8SequenceIJLi0EEEENSH_IJLi1EEEENSH_IJLi2EEEEEEENS7_IJNSH_IJLi1ELi2EEEENSH_IJLi3EEEENSH_IJLi4EEEEEEENSH_IJLi3ELi4EEEElEESR_SR_Li1ELi256ELi256ELi256ELi128ELi32ELi8ELi8ELi16ELi16ELi8ELi4ENSH_IJLi4ELi64ELi1EEEENSH_IJLi1ELi0ELi2EEEEST_Li2ELi8ELi8ELb0ELi1ESS_ST_ST_Li2ELi8ELi8ELb0ELi1ELi1ELi1ENSH_IJLi1ELi32ELi1ELi8EEEELi4EEEDF16_DF16_S4_S4_S4_NS6_INS7_IJSD_SF_SF_NS_7UnMergeINS7_IJiNSA_IiLi8EEEEEELb0EEESF_EEENS7_IJSI_SJ_SK_SO_SN_EEENS7_IJSM_SN_SO_NSH_IJLi5ELi6EEEENSH_IJLi7EEEEEEENSH_IJLi5ELi7ELi6EEEElEES16_NS6_INS7_IJSD_SF_SF_NSW_INS7_IJiNSA_IiLi256EEEEEELb0EEENSW_INS7_IJiNSA_IiLi128EEEEEELb0EEEEEENS7_IJSI_SJ_SK_SN_SO_EEENS7_IJSM_SN_SO_S12_NSH_IJLi7ELi8EEEEEEENSH_IJLi5ELi6ELi7ELi8EEEElEENS_13TensorAdaptorINS7_IJNSW_ISC_Lb0EEES1K_NS_23Merge_v2_magic_divisionINS7_IJiiSB_SB_EEEEEEEENS7_IJSI_SJ_NSH_IJLi2ELi3ELi4ELi5EEEEEEENS7_IJNSH_IJLi2ELi4EEEENSH_IJLi3ELi5EEEENSH_IJLi6EEEEEEENSH_IJLi0ELi1EEEES1T_EELb0EEEvPKT0_S1Z_PT1_T2_T3_T4_T5_T6_T7_T8_
	.p2align	8
	.type	_ZN2ck37kernel_gemm_xdl_waveletmodel_cshuffleINS_53GridwiseGemm_k0mk1_k0nk1_mn_xdl_waveletmodel_cshuffleIDF16_fDF16_DF16_NS_16tensor_operation12element_wise11PassThroughES4_S4_LNS_25InMemoryDataOperationEnumE0ENS_16TensorDescriptorINS_5TupleIJNS_5EmbedINS7_IJiiEEENS7_IJiNS_17integral_constantIiLi1EEEEEELb0EEENS_11PassThroughIiEESF_EEENS7_IJNS_8SequenceIJLi0EEEENSH_IJLi1EEEENSH_IJLi2EEEEEEENS7_IJNSH_IJLi1ELi2EEEENSH_IJLi3EEEENSH_IJLi4EEEEEEENSH_IJLi3ELi4EEEElEESR_SR_Li1ELi256ELi256ELi256ELi128ELi32ELi8ELi8ELi16ELi16ELi8ELi4ENSH_IJLi4ELi64ELi1EEEENSH_IJLi1ELi0ELi2EEEEST_Li2ELi8ELi8ELb0ELi1ESS_ST_ST_Li2ELi8ELi8ELb0ELi1ELi1ELi1ENSH_IJLi1ELi32ELi1ELi8EEEELi4EEEDF16_DF16_S4_S4_S4_NS6_INS7_IJSD_SF_SF_NS_7UnMergeINS7_IJiNSA_IiLi8EEEEEELb0EEESF_EEENS7_IJSI_SJ_SK_SO_SN_EEENS7_IJSM_SN_SO_NSH_IJLi5ELi6EEEENSH_IJLi7EEEEEEENSH_IJLi5ELi7ELi6EEEElEES16_NS6_INS7_IJSD_SF_SF_NSW_INS7_IJiNSA_IiLi256EEEEEELb0EEENSW_INS7_IJiNSA_IiLi128EEEEEELb0EEEEEENS7_IJSI_SJ_SK_SN_SO_EEENS7_IJSM_SN_SO_S12_NSH_IJLi7ELi8EEEEEEENSH_IJLi5ELi6ELi7ELi8EEEElEENS_13TensorAdaptorINS7_IJNSW_ISC_Lb0EEES1K_NS_23Merge_v2_magic_divisionINS7_IJiiSB_SB_EEEEEEEENS7_IJSI_SJ_NSH_IJLi2ELi3ELi4ELi5EEEEEEENS7_IJNSH_IJLi2ELi4EEEENSH_IJLi3ELi5EEEENSH_IJLi6EEEEEEENSH_IJLi0ELi1EEEES1T_EELb0EEEvPKT0_S1Z_PT1_T2_T3_T4_T5_T6_T7_T8_,@function
_ZN2ck37kernel_gemm_xdl_waveletmodel_cshuffleINS_53GridwiseGemm_k0mk1_k0nk1_mn_xdl_waveletmodel_cshuffleIDF16_fDF16_DF16_NS_16tensor_operation12element_wise11PassThroughES4_S4_LNS_25InMemoryDataOperationEnumE0ENS_16TensorDescriptorINS_5TupleIJNS_5EmbedINS7_IJiiEEENS7_IJiNS_17integral_constantIiLi1EEEEEELb0EEENS_11PassThroughIiEESF_EEENS7_IJNS_8SequenceIJLi0EEEENSH_IJLi1EEEENSH_IJLi2EEEEEEENS7_IJNSH_IJLi1ELi2EEEENSH_IJLi3EEEENSH_IJLi4EEEEEEENSH_IJLi3ELi4EEEElEESR_SR_Li1ELi256ELi256ELi256ELi128ELi32ELi8ELi8ELi16ELi16ELi8ELi4ENSH_IJLi4ELi64ELi1EEEENSH_IJLi1ELi0ELi2EEEEST_Li2ELi8ELi8ELb0ELi1ESS_ST_ST_Li2ELi8ELi8ELb0ELi1ELi1ELi1ENSH_IJLi1ELi32ELi1ELi8EEEELi4EEEDF16_DF16_S4_S4_S4_NS6_INS7_IJSD_SF_SF_NS_7UnMergeINS7_IJiNSA_IiLi8EEEEEELb0EEESF_EEENS7_IJSI_SJ_SK_SO_SN_EEENS7_IJSM_SN_SO_NSH_IJLi5ELi6EEEENSH_IJLi7EEEEEEENSH_IJLi5ELi7ELi6EEEElEES16_NS6_INS7_IJSD_SF_SF_NSW_INS7_IJiNSA_IiLi256EEEEEELb0EEENSW_INS7_IJiNSA_IiLi128EEEEEELb0EEEEEENS7_IJSI_SJ_SK_SN_SO_EEENS7_IJSM_SN_SO_S12_NSH_IJLi7ELi8EEEEEEENSH_IJLi5ELi6ELi7ELi8EEEElEENS_13TensorAdaptorINS7_IJNSW_ISC_Lb0EEES1K_NS_23Merge_v2_magic_divisionINS7_IJiiSB_SB_EEEEEEEENS7_IJSI_SJ_NSH_IJLi2ELi3ELi4ELi5EEEEEEENS7_IJNSH_IJLi2ELi4EEEENSH_IJLi3ELi5EEEENSH_IJLi6EEEEEEENSH_IJLi0ELi1EEEES1T_EELb0EEEvPKT0_S1Z_PT1_T2_T3_T4_T5_T6_T7_T8_: ; @_ZN2ck37kernel_gemm_xdl_waveletmodel_cshuffleINS_53GridwiseGemm_k0mk1_k0nk1_mn_xdl_waveletmodel_cshuffleIDF16_fDF16_DF16_NS_16tensor_operation12element_wise11PassThroughES4_S4_LNS_25InMemoryDataOperationEnumE0ENS_16TensorDescriptorINS_5TupleIJNS_5EmbedINS7_IJiiEEENS7_IJiNS_17integral_constantIiLi1EEEEEELb0EEENS_11PassThroughIiEESF_EEENS7_IJNS_8SequenceIJLi0EEEENSH_IJLi1EEEENSH_IJLi2EEEEEEENS7_IJNSH_IJLi1ELi2EEEENSH_IJLi3EEEENSH_IJLi4EEEEEEENSH_IJLi3ELi4EEEElEESR_SR_Li1ELi256ELi256ELi256ELi128ELi32ELi8ELi8ELi16ELi16ELi8ELi4ENSH_IJLi4ELi64ELi1EEEENSH_IJLi1ELi0ELi2EEEEST_Li2ELi8ELi8ELb0ELi1ESS_ST_ST_Li2ELi8ELi8ELb0ELi1ELi1ELi1ENSH_IJLi1ELi32ELi1ELi8EEEELi4EEEDF16_DF16_S4_S4_S4_NS6_INS7_IJSD_SF_SF_NS_7UnMergeINS7_IJiNSA_IiLi8EEEEEELb0EEESF_EEENS7_IJSI_SJ_SK_SO_SN_EEENS7_IJSM_SN_SO_NSH_IJLi5ELi6EEEENSH_IJLi7EEEEEEENSH_IJLi5ELi7ELi6EEEElEES16_NS6_INS7_IJSD_SF_SF_NSW_INS7_IJiNSA_IiLi256EEEEEELb0EEENSW_INS7_IJiNSA_IiLi128EEEEEELb0EEEEEENS7_IJSI_SJ_SK_SN_SO_EEENS7_IJSM_SN_SO_S12_NSH_IJLi7ELi8EEEEEEENSH_IJLi5ELi6ELi7ELi8EEEElEENS_13TensorAdaptorINS7_IJNSW_ISC_Lb0EEES1K_NS_23Merge_v2_magic_divisionINS7_IJiiSB_SB_EEEEEEEENS7_IJSI_SJ_NSH_IJLi2ELi3ELi4ELi5EEEEEEENS7_IJNSH_IJLi2ELi4EEEENSH_IJLi3ELi5EEEENSH_IJLi6EEEEEEENSH_IJLi0ELi1EEEES1T_EELb0EEEvPKT0_S1Z_PT1_T2_T3_T4_T5_T6_T7_T8_
; %bb.0:
	s_endpgm
	.section	.rodata,"a",@progbits
	.p2align	6, 0x0
	.amdhsa_kernel _ZN2ck37kernel_gemm_xdl_waveletmodel_cshuffleINS_53GridwiseGemm_k0mk1_k0nk1_mn_xdl_waveletmodel_cshuffleIDF16_fDF16_DF16_NS_16tensor_operation12element_wise11PassThroughES4_S4_LNS_25InMemoryDataOperationEnumE0ENS_16TensorDescriptorINS_5TupleIJNS_5EmbedINS7_IJiiEEENS7_IJiNS_17integral_constantIiLi1EEEEEELb0EEENS_11PassThroughIiEESF_EEENS7_IJNS_8SequenceIJLi0EEEENSH_IJLi1EEEENSH_IJLi2EEEEEEENS7_IJNSH_IJLi1ELi2EEEENSH_IJLi3EEEENSH_IJLi4EEEEEEENSH_IJLi3ELi4EEEElEESR_SR_Li1ELi256ELi256ELi256ELi128ELi32ELi8ELi8ELi16ELi16ELi8ELi4ENSH_IJLi4ELi64ELi1EEEENSH_IJLi1ELi0ELi2EEEEST_Li2ELi8ELi8ELb0ELi1ESS_ST_ST_Li2ELi8ELi8ELb0ELi1ELi1ELi1ENSH_IJLi1ELi32ELi1ELi8EEEELi4EEEDF16_DF16_S4_S4_S4_NS6_INS7_IJSD_SF_SF_NS_7UnMergeINS7_IJiNSA_IiLi8EEEEEELb0EEESF_EEENS7_IJSI_SJ_SK_SO_SN_EEENS7_IJSM_SN_SO_NSH_IJLi5ELi6EEEENSH_IJLi7EEEEEEENSH_IJLi5ELi7ELi6EEEElEES16_NS6_INS7_IJSD_SF_SF_NSW_INS7_IJiNSA_IiLi256EEEEEELb0EEENSW_INS7_IJiNSA_IiLi128EEEEEELb0EEEEEENS7_IJSI_SJ_SK_SN_SO_EEENS7_IJSM_SN_SO_S12_NSH_IJLi7ELi8EEEEEEENSH_IJLi5ELi6ELi7ELi8EEEElEENS_13TensorAdaptorINS7_IJNSW_ISC_Lb0EEES1K_NS_23Merge_v2_magic_divisionINS7_IJiiSB_SB_EEEEEEEENS7_IJSI_SJ_NSH_IJLi2ELi3ELi4ELi5EEEEEEENS7_IJNSH_IJLi2ELi4EEEENSH_IJLi3ELi5EEEENSH_IJLi6EEEEEEENSH_IJLi0ELi1EEEES1T_EELb0EEEvPKT0_S1Z_PT1_T2_T3_T4_T5_T6_T7_T8_
		.amdhsa_group_segment_fixed_size 0
		.amdhsa_private_segment_fixed_size 0
		.amdhsa_kernarg_size 276
		.amdhsa_user_sgpr_count 2
		.amdhsa_user_sgpr_dispatch_ptr 0
		.amdhsa_user_sgpr_queue_ptr 0
		.amdhsa_user_sgpr_kernarg_segment_ptr 1
		.amdhsa_user_sgpr_dispatch_id 0
		.amdhsa_user_sgpr_private_segment_size 0
		.amdhsa_wavefront_size32 1
		.amdhsa_uses_dynamic_stack 0
		.amdhsa_enable_private_segment 0
		.amdhsa_system_sgpr_workgroup_id_x 1
		.amdhsa_system_sgpr_workgroup_id_y 0
		.amdhsa_system_sgpr_workgroup_id_z 0
		.amdhsa_system_sgpr_workgroup_info 0
		.amdhsa_system_vgpr_workitem_id 0
		.amdhsa_next_free_vgpr 1
		.amdhsa_next_free_sgpr 1
		.amdhsa_reserve_vcc 0
		.amdhsa_float_round_mode_32 0
		.amdhsa_float_round_mode_16_64 0
		.amdhsa_float_denorm_mode_32 3
		.amdhsa_float_denorm_mode_16_64 3
		.amdhsa_fp16_overflow 0
		.amdhsa_workgroup_processor_mode 1
		.amdhsa_memory_ordered 1
		.amdhsa_forward_progress 1
		.amdhsa_inst_pref_size 1
		.amdhsa_round_robin_scheduling 0
		.amdhsa_exception_fp_ieee_invalid_op 0
		.amdhsa_exception_fp_denorm_src 0
		.amdhsa_exception_fp_ieee_div_zero 0
		.amdhsa_exception_fp_ieee_overflow 0
		.amdhsa_exception_fp_ieee_underflow 0
		.amdhsa_exception_fp_ieee_inexact 0
		.amdhsa_exception_int_div_zero 0
	.end_amdhsa_kernel
	.section	.text._ZN2ck37kernel_gemm_xdl_waveletmodel_cshuffleINS_53GridwiseGemm_k0mk1_k0nk1_mn_xdl_waveletmodel_cshuffleIDF16_fDF16_DF16_NS_16tensor_operation12element_wise11PassThroughES4_S4_LNS_25InMemoryDataOperationEnumE0ENS_16TensorDescriptorINS_5TupleIJNS_5EmbedINS7_IJiiEEENS7_IJiNS_17integral_constantIiLi1EEEEEELb0EEENS_11PassThroughIiEESF_EEENS7_IJNS_8SequenceIJLi0EEEENSH_IJLi1EEEENSH_IJLi2EEEEEEENS7_IJNSH_IJLi1ELi2EEEENSH_IJLi3EEEENSH_IJLi4EEEEEEENSH_IJLi3ELi4EEEElEESR_SR_Li1ELi256ELi256ELi256ELi128ELi32ELi8ELi8ELi16ELi16ELi8ELi4ENSH_IJLi4ELi64ELi1EEEENSH_IJLi1ELi0ELi2EEEEST_Li2ELi8ELi8ELb0ELi1ESS_ST_ST_Li2ELi8ELi8ELb0ELi1ELi1ELi1ENSH_IJLi1ELi32ELi1ELi8EEEELi4EEEDF16_DF16_S4_S4_S4_NS6_INS7_IJSD_SF_SF_NS_7UnMergeINS7_IJiNSA_IiLi8EEEEEELb0EEESF_EEENS7_IJSI_SJ_SK_SO_SN_EEENS7_IJSM_SN_SO_NSH_IJLi5ELi6EEEENSH_IJLi7EEEEEEENSH_IJLi5ELi7ELi6EEEElEES16_NS6_INS7_IJSD_SF_SF_NSW_INS7_IJiNSA_IiLi256EEEEEELb0EEENSW_INS7_IJiNSA_IiLi128EEEEEELb0EEEEEENS7_IJSI_SJ_SK_SN_SO_EEENS7_IJSM_SN_SO_S12_NSH_IJLi7ELi8EEEEEEENSH_IJLi5ELi6ELi7ELi8EEEElEENS_13TensorAdaptorINS7_IJNSW_ISC_Lb0EEES1K_NS_23Merge_v2_magic_divisionINS7_IJiiSB_SB_EEEEEEEENS7_IJSI_SJ_NSH_IJLi2ELi3ELi4ELi5EEEEEEENS7_IJNSH_IJLi2ELi4EEEENSH_IJLi3ELi5EEEENSH_IJLi6EEEEEEENSH_IJLi0ELi1EEEES1T_EELb0EEEvPKT0_S1Z_PT1_T2_T3_T4_T5_T6_T7_T8_,"axG",@progbits,_ZN2ck37kernel_gemm_xdl_waveletmodel_cshuffleINS_53GridwiseGemm_k0mk1_k0nk1_mn_xdl_waveletmodel_cshuffleIDF16_fDF16_DF16_NS_16tensor_operation12element_wise11PassThroughES4_S4_LNS_25InMemoryDataOperationEnumE0ENS_16TensorDescriptorINS_5TupleIJNS_5EmbedINS7_IJiiEEENS7_IJiNS_17integral_constantIiLi1EEEEEELb0EEENS_11PassThroughIiEESF_EEENS7_IJNS_8SequenceIJLi0EEEENSH_IJLi1EEEENSH_IJLi2EEEEEEENS7_IJNSH_IJLi1ELi2EEEENSH_IJLi3EEEENSH_IJLi4EEEEEEENSH_IJLi3ELi4EEEElEESR_SR_Li1ELi256ELi256ELi256ELi128ELi32ELi8ELi8ELi16ELi16ELi8ELi4ENSH_IJLi4ELi64ELi1EEEENSH_IJLi1ELi0ELi2EEEEST_Li2ELi8ELi8ELb0ELi1ESS_ST_ST_Li2ELi8ELi8ELb0ELi1ELi1ELi1ENSH_IJLi1ELi32ELi1ELi8EEEELi4EEEDF16_DF16_S4_S4_S4_NS6_INS7_IJSD_SF_SF_NS_7UnMergeINS7_IJiNSA_IiLi8EEEEEELb0EEESF_EEENS7_IJSI_SJ_SK_SO_SN_EEENS7_IJSM_SN_SO_NSH_IJLi5ELi6EEEENSH_IJLi7EEEEEEENSH_IJLi5ELi7ELi6EEEElEES16_NS6_INS7_IJSD_SF_SF_NSW_INS7_IJiNSA_IiLi256EEEEEELb0EEENSW_INS7_IJiNSA_IiLi128EEEEEELb0EEEEEENS7_IJSI_SJ_SK_SN_SO_EEENS7_IJSM_SN_SO_S12_NSH_IJLi7ELi8EEEEEEENSH_IJLi5ELi6ELi7ELi8EEEElEENS_13TensorAdaptorINS7_IJNSW_ISC_Lb0EEES1K_NS_23Merge_v2_magic_divisionINS7_IJiiSB_SB_EEEEEEEENS7_IJSI_SJ_NSH_IJLi2ELi3ELi4ELi5EEEEEEENS7_IJNSH_IJLi2ELi4EEEENSH_IJLi3ELi5EEEENSH_IJLi6EEEEEEENSH_IJLi0ELi1EEEES1T_EELb0EEEvPKT0_S1Z_PT1_T2_T3_T4_T5_T6_T7_T8_,comdat
.Lfunc_end2:
	.size	_ZN2ck37kernel_gemm_xdl_waveletmodel_cshuffleINS_53GridwiseGemm_k0mk1_k0nk1_mn_xdl_waveletmodel_cshuffleIDF16_fDF16_DF16_NS_16tensor_operation12element_wise11PassThroughES4_S4_LNS_25InMemoryDataOperationEnumE0ENS_16TensorDescriptorINS_5TupleIJNS_5EmbedINS7_IJiiEEENS7_IJiNS_17integral_constantIiLi1EEEEEELb0EEENS_11PassThroughIiEESF_EEENS7_IJNS_8SequenceIJLi0EEEENSH_IJLi1EEEENSH_IJLi2EEEEEEENS7_IJNSH_IJLi1ELi2EEEENSH_IJLi3EEEENSH_IJLi4EEEEEEENSH_IJLi3ELi4EEEElEESR_SR_Li1ELi256ELi256ELi256ELi128ELi32ELi8ELi8ELi16ELi16ELi8ELi4ENSH_IJLi4ELi64ELi1EEEENSH_IJLi1ELi0ELi2EEEEST_Li2ELi8ELi8ELb0ELi1ESS_ST_ST_Li2ELi8ELi8ELb0ELi1ELi1ELi1ENSH_IJLi1ELi32ELi1ELi8EEEELi4EEEDF16_DF16_S4_S4_S4_NS6_INS7_IJSD_SF_SF_NS_7UnMergeINS7_IJiNSA_IiLi8EEEEEELb0EEESF_EEENS7_IJSI_SJ_SK_SO_SN_EEENS7_IJSM_SN_SO_NSH_IJLi5ELi6EEEENSH_IJLi7EEEEEEENSH_IJLi5ELi7ELi6EEEElEES16_NS6_INS7_IJSD_SF_SF_NSW_INS7_IJiNSA_IiLi256EEEEEELb0EEENSW_INS7_IJiNSA_IiLi128EEEEEELb0EEEEEENS7_IJSI_SJ_SK_SN_SO_EEENS7_IJSM_SN_SO_S12_NSH_IJLi7ELi8EEEEEEENSH_IJLi5ELi6ELi7ELi8EEEElEENS_13TensorAdaptorINS7_IJNSW_ISC_Lb0EEES1K_NS_23Merge_v2_magic_divisionINS7_IJiiSB_SB_EEEEEEEENS7_IJSI_SJ_NSH_IJLi2ELi3ELi4ELi5EEEEEEENS7_IJNSH_IJLi2ELi4EEEENSH_IJLi3ELi5EEEENSH_IJLi6EEEEEEENSH_IJLi0ELi1EEEES1T_EELb0EEEvPKT0_S1Z_PT1_T2_T3_T4_T5_T6_T7_T8_, .Lfunc_end2-_ZN2ck37kernel_gemm_xdl_waveletmodel_cshuffleINS_53GridwiseGemm_k0mk1_k0nk1_mn_xdl_waveletmodel_cshuffleIDF16_fDF16_DF16_NS_16tensor_operation12element_wise11PassThroughES4_S4_LNS_25InMemoryDataOperationEnumE0ENS_16TensorDescriptorINS_5TupleIJNS_5EmbedINS7_IJiiEEENS7_IJiNS_17integral_constantIiLi1EEEEEELb0EEENS_11PassThroughIiEESF_EEENS7_IJNS_8SequenceIJLi0EEEENSH_IJLi1EEEENSH_IJLi2EEEEEEENS7_IJNSH_IJLi1ELi2EEEENSH_IJLi3EEEENSH_IJLi4EEEEEEENSH_IJLi3ELi4EEEElEESR_SR_Li1ELi256ELi256ELi256ELi128ELi32ELi8ELi8ELi16ELi16ELi8ELi4ENSH_IJLi4ELi64ELi1EEEENSH_IJLi1ELi0ELi2EEEEST_Li2ELi8ELi8ELb0ELi1ESS_ST_ST_Li2ELi8ELi8ELb0ELi1ELi1ELi1ENSH_IJLi1ELi32ELi1ELi8EEEELi4EEEDF16_DF16_S4_S4_S4_NS6_INS7_IJSD_SF_SF_NS_7UnMergeINS7_IJiNSA_IiLi8EEEEEELb0EEESF_EEENS7_IJSI_SJ_SK_SO_SN_EEENS7_IJSM_SN_SO_NSH_IJLi5ELi6EEEENSH_IJLi7EEEEEEENSH_IJLi5ELi7ELi6EEEElEES16_NS6_INS7_IJSD_SF_SF_NSW_INS7_IJiNSA_IiLi256EEEEEELb0EEENSW_INS7_IJiNSA_IiLi128EEEEEELb0EEEEEENS7_IJSI_SJ_SK_SN_SO_EEENS7_IJSM_SN_SO_S12_NSH_IJLi7ELi8EEEEEEENSH_IJLi5ELi6ELi7ELi8EEEElEENS_13TensorAdaptorINS7_IJNSW_ISC_Lb0EEES1K_NS_23Merge_v2_magic_divisionINS7_IJiiSB_SB_EEEEEEEENS7_IJSI_SJ_NSH_IJLi2ELi3ELi4ELi5EEEEEEENS7_IJNSH_IJLi2ELi4EEEENSH_IJLi3ELi5EEEENSH_IJLi6EEEEEEENSH_IJLi0ELi1EEEES1T_EELb0EEEvPKT0_S1Z_PT1_T2_T3_T4_T5_T6_T7_T8_
                                        ; -- End function
	.set _ZN2ck37kernel_gemm_xdl_waveletmodel_cshuffleINS_53GridwiseGemm_k0mk1_k0nk1_mn_xdl_waveletmodel_cshuffleIDF16_fDF16_DF16_NS_16tensor_operation12element_wise11PassThroughES4_S4_LNS_25InMemoryDataOperationEnumE0ENS_16TensorDescriptorINS_5TupleIJNS_5EmbedINS7_IJiiEEENS7_IJiNS_17integral_constantIiLi1EEEEEELb0EEENS_11PassThroughIiEESF_EEENS7_IJNS_8SequenceIJLi0EEEENSH_IJLi1EEEENSH_IJLi2EEEEEEENS7_IJNSH_IJLi1ELi2EEEENSH_IJLi3EEEENSH_IJLi4EEEEEEENSH_IJLi3ELi4EEEElEESR_SR_Li1ELi256ELi256ELi256ELi128ELi32ELi8ELi8ELi16ELi16ELi8ELi4ENSH_IJLi4ELi64ELi1EEEENSH_IJLi1ELi0ELi2EEEEST_Li2ELi8ELi8ELb0ELi1ESS_ST_ST_Li2ELi8ELi8ELb0ELi1ELi1ELi1ENSH_IJLi1ELi32ELi1ELi8EEEELi4EEEDF16_DF16_S4_S4_S4_NS6_INS7_IJSD_SF_SF_NS_7UnMergeINS7_IJiNSA_IiLi8EEEEEELb0EEESF_EEENS7_IJSI_SJ_SK_SO_SN_EEENS7_IJSM_SN_SO_NSH_IJLi5ELi6EEEENSH_IJLi7EEEEEEENSH_IJLi5ELi7ELi6EEEElEES16_NS6_INS7_IJSD_SF_SF_NSW_INS7_IJiNSA_IiLi256EEEEEELb0EEENSW_INS7_IJiNSA_IiLi128EEEEEELb0EEEEEENS7_IJSI_SJ_SK_SN_SO_EEENS7_IJSM_SN_SO_S12_NSH_IJLi7ELi8EEEEEEENSH_IJLi5ELi6ELi7ELi8EEEElEENS_13TensorAdaptorINS7_IJNSW_ISC_Lb0EEES1K_NS_23Merge_v2_magic_divisionINS7_IJiiSB_SB_EEEEEEEENS7_IJSI_SJ_NSH_IJLi2ELi3ELi4ELi5EEEEEEENS7_IJNSH_IJLi2ELi4EEEENSH_IJLi3ELi5EEEENSH_IJLi6EEEEEEENSH_IJLi0ELi1EEEES1T_EELb0EEEvPKT0_S1Z_PT1_T2_T3_T4_T5_T6_T7_T8_.num_vgpr, 0
	.set _ZN2ck37kernel_gemm_xdl_waveletmodel_cshuffleINS_53GridwiseGemm_k0mk1_k0nk1_mn_xdl_waveletmodel_cshuffleIDF16_fDF16_DF16_NS_16tensor_operation12element_wise11PassThroughES4_S4_LNS_25InMemoryDataOperationEnumE0ENS_16TensorDescriptorINS_5TupleIJNS_5EmbedINS7_IJiiEEENS7_IJiNS_17integral_constantIiLi1EEEEEELb0EEENS_11PassThroughIiEESF_EEENS7_IJNS_8SequenceIJLi0EEEENSH_IJLi1EEEENSH_IJLi2EEEEEEENS7_IJNSH_IJLi1ELi2EEEENSH_IJLi3EEEENSH_IJLi4EEEEEEENSH_IJLi3ELi4EEEElEESR_SR_Li1ELi256ELi256ELi256ELi128ELi32ELi8ELi8ELi16ELi16ELi8ELi4ENSH_IJLi4ELi64ELi1EEEENSH_IJLi1ELi0ELi2EEEEST_Li2ELi8ELi8ELb0ELi1ESS_ST_ST_Li2ELi8ELi8ELb0ELi1ELi1ELi1ENSH_IJLi1ELi32ELi1ELi8EEEELi4EEEDF16_DF16_S4_S4_S4_NS6_INS7_IJSD_SF_SF_NS_7UnMergeINS7_IJiNSA_IiLi8EEEEEELb0EEESF_EEENS7_IJSI_SJ_SK_SO_SN_EEENS7_IJSM_SN_SO_NSH_IJLi5ELi6EEEENSH_IJLi7EEEEEEENSH_IJLi5ELi7ELi6EEEElEES16_NS6_INS7_IJSD_SF_SF_NSW_INS7_IJiNSA_IiLi256EEEEEELb0EEENSW_INS7_IJiNSA_IiLi128EEEEEELb0EEEEEENS7_IJSI_SJ_SK_SN_SO_EEENS7_IJSM_SN_SO_S12_NSH_IJLi7ELi8EEEEEEENSH_IJLi5ELi6ELi7ELi8EEEElEENS_13TensorAdaptorINS7_IJNSW_ISC_Lb0EEES1K_NS_23Merge_v2_magic_divisionINS7_IJiiSB_SB_EEEEEEEENS7_IJSI_SJ_NSH_IJLi2ELi3ELi4ELi5EEEEEEENS7_IJNSH_IJLi2ELi4EEEENSH_IJLi3ELi5EEEENSH_IJLi6EEEEEEENSH_IJLi0ELi1EEEES1T_EELb0EEEvPKT0_S1Z_PT1_T2_T3_T4_T5_T6_T7_T8_.num_agpr, 0
	.set _ZN2ck37kernel_gemm_xdl_waveletmodel_cshuffleINS_53GridwiseGemm_k0mk1_k0nk1_mn_xdl_waveletmodel_cshuffleIDF16_fDF16_DF16_NS_16tensor_operation12element_wise11PassThroughES4_S4_LNS_25InMemoryDataOperationEnumE0ENS_16TensorDescriptorINS_5TupleIJNS_5EmbedINS7_IJiiEEENS7_IJiNS_17integral_constantIiLi1EEEEEELb0EEENS_11PassThroughIiEESF_EEENS7_IJNS_8SequenceIJLi0EEEENSH_IJLi1EEEENSH_IJLi2EEEEEEENS7_IJNSH_IJLi1ELi2EEEENSH_IJLi3EEEENSH_IJLi4EEEEEEENSH_IJLi3ELi4EEEElEESR_SR_Li1ELi256ELi256ELi256ELi128ELi32ELi8ELi8ELi16ELi16ELi8ELi4ENSH_IJLi4ELi64ELi1EEEENSH_IJLi1ELi0ELi2EEEEST_Li2ELi8ELi8ELb0ELi1ESS_ST_ST_Li2ELi8ELi8ELb0ELi1ELi1ELi1ENSH_IJLi1ELi32ELi1ELi8EEEELi4EEEDF16_DF16_S4_S4_S4_NS6_INS7_IJSD_SF_SF_NS_7UnMergeINS7_IJiNSA_IiLi8EEEEEELb0EEESF_EEENS7_IJSI_SJ_SK_SO_SN_EEENS7_IJSM_SN_SO_NSH_IJLi5ELi6EEEENSH_IJLi7EEEEEEENSH_IJLi5ELi7ELi6EEEElEES16_NS6_INS7_IJSD_SF_SF_NSW_INS7_IJiNSA_IiLi256EEEEEELb0EEENSW_INS7_IJiNSA_IiLi128EEEEEELb0EEEEEENS7_IJSI_SJ_SK_SN_SO_EEENS7_IJSM_SN_SO_S12_NSH_IJLi7ELi8EEEEEEENSH_IJLi5ELi6ELi7ELi8EEEElEENS_13TensorAdaptorINS7_IJNSW_ISC_Lb0EEES1K_NS_23Merge_v2_magic_divisionINS7_IJiiSB_SB_EEEEEEEENS7_IJSI_SJ_NSH_IJLi2ELi3ELi4ELi5EEEEEEENS7_IJNSH_IJLi2ELi4EEEENSH_IJLi3ELi5EEEENSH_IJLi6EEEEEEENSH_IJLi0ELi1EEEES1T_EELb0EEEvPKT0_S1Z_PT1_T2_T3_T4_T5_T6_T7_T8_.numbered_sgpr, 0
	.set _ZN2ck37kernel_gemm_xdl_waveletmodel_cshuffleINS_53GridwiseGemm_k0mk1_k0nk1_mn_xdl_waveletmodel_cshuffleIDF16_fDF16_DF16_NS_16tensor_operation12element_wise11PassThroughES4_S4_LNS_25InMemoryDataOperationEnumE0ENS_16TensorDescriptorINS_5TupleIJNS_5EmbedINS7_IJiiEEENS7_IJiNS_17integral_constantIiLi1EEEEEELb0EEENS_11PassThroughIiEESF_EEENS7_IJNS_8SequenceIJLi0EEEENSH_IJLi1EEEENSH_IJLi2EEEEEEENS7_IJNSH_IJLi1ELi2EEEENSH_IJLi3EEEENSH_IJLi4EEEEEEENSH_IJLi3ELi4EEEElEESR_SR_Li1ELi256ELi256ELi256ELi128ELi32ELi8ELi8ELi16ELi16ELi8ELi4ENSH_IJLi4ELi64ELi1EEEENSH_IJLi1ELi0ELi2EEEEST_Li2ELi8ELi8ELb0ELi1ESS_ST_ST_Li2ELi8ELi8ELb0ELi1ELi1ELi1ENSH_IJLi1ELi32ELi1ELi8EEEELi4EEEDF16_DF16_S4_S4_S4_NS6_INS7_IJSD_SF_SF_NS_7UnMergeINS7_IJiNSA_IiLi8EEEEEELb0EEESF_EEENS7_IJSI_SJ_SK_SO_SN_EEENS7_IJSM_SN_SO_NSH_IJLi5ELi6EEEENSH_IJLi7EEEEEEENSH_IJLi5ELi7ELi6EEEElEES16_NS6_INS7_IJSD_SF_SF_NSW_INS7_IJiNSA_IiLi256EEEEEELb0EEENSW_INS7_IJiNSA_IiLi128EEEEEELb0EEEEEENS7_IJSI_SJ_SK_SN_SO_EEENS7_IJSM_SN_SO_S12_NSH_IJLi7ELi8EEEEEEENSH_IJLi5ELi6ELi7ELi8EEEElEENS_13TensorAdaptorINS7_IJNSW_ISC_Lb0EEES1K_NS_23Merge_v2_magic_divisionINS7_IJiiSB_SB_EEEEEEEENS7_IJSI_SJ_NSH_IJLi2ELi3ELi4ELi5EEEEEEENS7_IJNSH_IJLi2ELi4EEEENSH_IJLi3ELi5EEEENSH_IJLi6EEEEEEENSH_IJLi0ELi1EEEES1T_EELb0EEEvPKT0_S1Z_PT1_T2_T3_T4_T5_T6_T7_T8_.num_named_barrier, 0
	.set _ZN2ck37kernel_gemm_xdl_waveletmodel_cshuffleINS_53GridwiseGemm_k0mk1_k0nk1_mn_xdl_waveletmodel_cshuffleIDF16_fDF16_DF16_NS_16tensor_operation12element_wise11PassThroughES4_S4_LNS_25InMemoryDataOperationEnumE0ENS_16TensorDescriptorINS_5TupleIJNS_5EmbedINS7_IJiiEEENS7_IJiNS_17integral_constantIiLi1EEEEEELb0EEENS_11PassThroughIiEESF_EEENS7_IJNS_8SequenceIJLi0EEEENSH_IJLi1EEEENSH_IJLi2EEEEEEENS7_IJNSH_IJLi1ELi2EEEENSH_IJLi3EEEENSH_IJLi4EEEEEEENSH_IJLi3ELi4EEEElEESR_SR_Li1ELi256ELi256ELi256ELi128ELi32ELi8ELi8ELi16ELi16ELi8ELi4ENSH_IJLi4ELi64ELi1EEEENSH_IJLi1ELi0ELi2EEEEST_Li2ELi8ELi8ELb0ELi1ESS_ST_ST_Li2ELi8ELi8ELb0ELi1ELi1ELi1ENSH_IJLi1ELi32ELi1ELi8EEEELi4EEEDF16_DF16_S4_S4_S4_NS6_INS7_IJSD_SF_SF_NS_7UnMergeINS7_IJiNSA_IiLi8EEEEEELb0EEESF_EEENS7_IJSI_SJ_SK_SO_SN_EEENS7_IJSM_SN_SO_NSH_IJLi5ELi6EEEENSH_IJLi7EEEEEEENSH_IJLi5ELi7ELi6EEEElEES16_NS6_INS7_IJSD_SF_SF_NSW_INS7_IJiNSA_IiLi256EEEEEELb0EEENSW_INS7_IJiNSA_IiLi128EEEEEELb0EEEEEENS7_IJSI_SJ_SK_SN_SO_EEENS7_IJSM_SN_SO_S12_NSH_IJLi7ELi8EEEEEEENSH_IJLi5ELi6ELi7ELi8EEEElEENS_13TensorAdaptorINS7_IJNSW_ISC_Lb0EEES1K_NS_23Merge_v2_magic_divisionINS7_IJiiSB_SB_EEEEEEEENS7_IJSI_SJ_NSH_IJLi2ELi3ELi4ELi5EEEEEEENS7_IJNSH_IJLi2ELi4EEEENSH_IJLi3ELi5EEEENSH_IJLi6EEEEEEENSH_IJLi0ELi1EEEES1T_EELb0EEEvPKT0_S1Z_PT1_T2_T3_T4_T5_T6_T7_T8_.private_seg_size, 0
	.set _ZN2ck37kernel_gemm_xdl_waveletmodel_cshuffleINS_53GridwiseGemm_k0mk1_k0nk1_mn_xdl_waveletmodel_cshuffleIDF16_fDF16_DF16_NS_16tensor_operation12element_wise11PassThroughES4_S4_LNS_25InMemoryDataOperationEnumE0ENS_16TensorDescriptorINS_5TupleIJNS_5EmbedINS7_IJiiEEENS7_IJiNS_17integral_constantIiLi1EEEEEELb0EEENS_11PassThroughIiEESF_EEENS7_IJNS_8SequenceIJLi0EEEENSH_IJLi1EEEENSH_IJLi2EEEEEEENS7_IJNSH_IJLi1ELi2EEEENSH_IJLi3EEEENSH_IJLi4EEEEEEENSH_IJLi3ELi4EEEElEESR_SR_Li1ELi256ELi256ELi256ELi128ELi32ELi8ELi8ELi16ELi16ELi8ELi4ENSH_IJLi4ELi64ELi1EEEENSH_IJLi1ELi0ELi2EEEEST_Li2ELi8ELi8ELb0ELi1ESS_ST_ST_Li2ELi8ELi8ELb0ELi1ELi1ELi1ENSH_IJLi1ELi32ELi1ELi8EEEELi4EEEDF16_DF16_S4_S4_S4_NS6_INS7_IJSD_SF_SF_NS_7UnMergeINS7_IJiNSA_IiLi8EEEEEELb0EEESF_EEENS7_IJSI_SJ_SK_SO_SN_EEENS7_IJSM_SN_SO_NSH_IJLi5ELi6EEEENSH_IJLi7EEEEEEENSH_IJLi5ELi7ELi6EEEElEES16_NS6_INS7_IJSD_SF_SF_NSW_INS7_IJiNSA_IiLi256EEEEEELb0EEENSW_INS7_IJiNSA_IiLi128EEEEEELb0EEEEEENS7_IJSI_SJ_SK_SN_SO_EEENS7_IJSM_SN_SO_S12_NSH_IJLi7ELi8EEEEEEENSH_IJLi5ELi6ELi7ELi8EEEElEENS_13TensorAdaptorINS7_IJNSW_ISC_Lb0EEES1K_NS_23Merge_v2_magic_divisionINS7_IJiiSB_SB_EEEEEEEENS7_IJSI_SJ_NSH_IJLi2ELi3ELi4ELi5EEEEEEENS7_IJNSH_IJLi2ELi4EEEENSH_IJLi3ELi5EEEENSH_IJLi6EEEEEEENSH_IJLi0ELi1EEEES1T_EELb0EEEvPKT0_S1Z_PT1_T2_T3_T4_T5_T6_T7_T8_.uses_vcc, 0
	.set _ZN2ck37kernel_gemm_xdl_waveletmodel_cshuffleINS_53GridwiseGemm_k0mk1_k0nk1_mn_xdl_waveletmodel_cshuffleIDF16_fDF16_DF16_NS_16tensor_operation12element_wise11PassThroughES4_S4_LNS_25InMemoryDataOperationEnumE0ENS_16TensorDescriptorINS_5TupleIJNS_5EmbedINS7_IJiiEEENS7_IJiNS_17integral_constantIiLi1EEEEEELb0EEENS_11PassThroughIiEESF_EEENS7_IJNS_8SequenceIJLi0EEEENSH_IJLi1EEEENSH_IJLi2EEEEEEENS7_IJNSH_IJLi1ELi2EEEENSH_IJLi3EEEENSH_IJLi4EEEEEEENSH_IJLi3ELi4EEEElEESR_SR_Li1ELi256ELi256ELi256ELi128ELi32ELi8ELi8ELi16ELi16ELi8ELi4ENSH_IJLi4ELi64ELi1EEEENSH_IJLi1ELi0ELi2EEEEST_Li2ELi8ELi8ELb0ELi1ESS_ST_ST_Li2ELi8ELi8ELb0ELi1ELi1ELi1ENSH_IJLi1ELi32ELi1ELi8EEEELi4EEEDF16_DF16_S4_S4_S4_NS6_INS7_IJSD_SF_SF_NS_7UnMergeINS7_IJiNSA_IiLi8EEEEEELb0EEESF_EEENS7_IJSI_SJ_SK_SO_SN_EEENS7_IJSM_SN_SO_NSH_IJLi5ELi6EEEENSH_IJLi7EEEEEEENSH_IJLi5ELi7ELi6EEEElEES16_NS6_INS7_IJSD_SF_SF_NSW_INS7_IJiNSA_IiLi256EEEEEELb0EEENSW_INS7_IJiNSA_IiLi128EEEEEELb0EEEEEENS7_IJSI_SJ_SK_SN_SO_EEENS7_IJSM_SN_SO_S12_NSH_IJLi7ELi8EEEEEEENSH_IJLi5ELi6ELi7ELi8EEEElEENS_13TensorAdaptorINS7_IJNSW_ISC_Lb0EEES1K_NS_23Merge_v2_magic_divisionINS7_IJiiSB_SB_EEEEEEEENS7_IJSI_SJ_NSH_IJLi2ELi3ELi4ELi5EEEEEEENS7_IJNSH_IJLi2ELi4EEEENSH_IJLi3ELi5EEEENSH_IJLi6EEEEEEENSH_IJLi0ELi1EEEES1T_EELb0EEEvPKT0_S1Z_PT1_T2_T3_T4_T5_T6_T7_T8_.uses_flat_scratch, 0
	.set _ZN2ck37kernel_gemm_xdl_waveletmodel_cshuffleINS_53GridwiseGemm_k0mk1_k0nk1_mn_xdl_waveletmodel_cshuffleIDF16_fDF16_DF16_NS_16tensor_operation12element_wise11PassThroughES4_S4_LNS_25InMemoryDataOperationEnumE0ENS_16TensorDescriptorINS_5TupleIJNS_5EmbedINS7_IJiiEEENS7_IJiNS_17integral_constantIiLi1EEEEEELb0EEENS_11PassThroughIiEESF_EEENS7_IJNS_8SequenceIJLi0EEEENSH_IJLi1EEEENSH_IJLi2EEEEEEENS7_IJNSH_IJLi1ELi2EEEENSH_IJLi3EEEENSH_IJLi4EEEEEEENSH_IJLi3ELi4EEEElEESR_SR_Li1ELi256ELi256ELi256ELi128ELi32ELi8ELi8ELi16ELi16ELi8ELi4ENSH_IJLi4ELi64ELi1EEEENSH_IJLi1ELi0ELi2EEEEST_Li2ELi8ELi8ELb0ELi1ESS_ST_ST_Li2ELi8ELi8ELb0ELi1ELi1ELi1ENSH_IJLi1ELi32ELi1ELi8EEEELi4EEEDF16_DF16_S4_S4_S4_NS6_INS7_IJSD_SF_SF_NS_7UnMergeINS7_IJiNSA_IiLi8EEEEEELb0EEESF_EEENS7_IJSI_SJ_SK_SO_SN_EEENS7_IJSM_SN_SO_NSH_IJLi5ELi6EEEENSH_IJLi7EEEEEEENSH_IJLi5ELi7ELi6EEEElEES16_NS6_INS7_IJSD_SF_SF_NSW_INS7_IJiNSA_IiLi256EEEEEELb0EEENSW_INS7_IJiNSA_IiLi128EEEEEELb0EEEEEENS7_IJSI_SJ_SK_SN_SO_EEENS7_IJSM_SN_SO_S12_NSH_IJLi7ELi8EEEEEEENSH_IJLi5ELi6ELi7ELi8EEEElEENS_13TensorAdaptorINS7_IJNSW_ISC_Lb0EEES1K_NS_23Merge_v2_magic_divisionINS7_IJiiSB_SB_EEEEEEEENS7_IJSI_SJ_NSH_IJLi2ELi3ELi4ELi5EEEEEEENS7_IJNSH_IJLi2ELi4EEEENSH_IJLi3ELi5EEEENSH_IJLi6EEEEEEENSH_IJLi0ELi1EEEES1T_EELb0EEEvPKT0_S1Z_PT1_T2_T3_T4_T5_T6_T7_T8_.has_dyn_sized_stack, 0
	.set _ZN2ck37kernel_gemm_xdl_waveletmodel_cshuffleINS_53GridwiseGemm_k0mk1_k0nk1_mn_xdl_waveletmodel_cshuffleIDF16_fDF16_DF16_NS_16tensor_operation12element_wise11PassThroughES4_S4_LNS_25InMemoryDataOperationEnumE0ENS_16TensorDescriptorINS_5TupleIJNS_5EmbedINS7_IJiiEEENS7_IJiNS_17integral_constantIiLi1EEEEEELb0EEENS_11PassThroughIiEESF_EEENS7_IJNS_8SequenceIJLi0EEEENSH_IJLi1EEEENSH_IJLi2EEEEEEENS7_IJNSH_IJLi1ELi2EEEENSH_IJLi3EEEENSH_IJLi4EEEEEEENSH_IJLi3ELi4EEEElEESR_SR_Li1ELi256ELi256ELi256ELi128ELi32ELi8ELi8ELi16ELi16ELi8ELi4ENSH_IJLi4ELi64ELi1EEEENSH_IJLi1ELi0ELi2EEEEST_Li2ELi8ELi8ELb0ELi1ESS_ST_ST_Li2ELi8ELi8ELb0ELi1ELi1ELi1ENSH_IJLi1ELi32ELi1ELi8EEEELi4EEEDF16_DF16_S4_S4_S4_NS6_INS7_IJSD_SF_SF_NS_7UnMergeINS7_IJiNSA_IiLi8EEEEEELb0EEESF_EEENS7_IJSI_SJ_SK_SO_SN_EEENS7_IJSM_SN_SO_NSH_IJLi5ELi6EEEENSH_IJLi7EEEEEEENSH_IJLi5ELi7ELi6EEEElEES16_NS6_INS7_IJSD_SF_SF_NSW_INS7_IJiNSA_IiLi256EEEEEELb0EEENSW_INS7_IJiNSA_IiLi128EEEEEELb0EEEEEENS7_IJSI_SJ_SK_SN_SO_EEENS7_IJSM_SN_SO_S12_NSH_IJLi7ELi8EEEEEEENSH_IJLi5ELi6ELi7ELi8EEEElEENS_13TensorAdaptorINS7_IJNSW_ISC_Lb0EEES1K_NS_23Merge_v2_magic_divisionINS7_IJiiSB_SB_EEEEEEEENS7_IJSI_SJ_NSH_IJLi2ELi3ELi4ELi5EEEEEEENS7_IJNSH_IJLi2ELi4EEEENSH_IJLi3ELi5EEEENSH_IJLi6EEEEEEENSH_IJLi0ELi1EEEES1T_EELb0EEEvPKT0_S1Z_PT1_T2_T3_T4_T5_T6_T7_T8_.has_recursion, 0
	.set _ZN2ck37kernel_gemm_xdl_waveletmodel_cshuffleINS_53GridwiseGemm_k0mk1_k0nk1_mn_xdl_waveletmodel_cshuffleIDF16_fDF16_DF16_NS_16tensor_operation12element_wise11PassThroughES4_S4_LNS_25InMemoryDataOperationEnumE0ENS_16TensorDescriptorINS_5TupleIJNS_5EmbedINS7_IJiiEEENS7_IJiNS_17integral_constantIiLi1EEEEEELb0EEENS_11PassThroughIiEESF_EEENS7_IJNS_8SequenceIJLi0EEEENSH_IJLi1EEEENSH_IJLi2EEEEEEENS7_IJNSH_IJLi1ELi2EEEENSH_IJLi3EEEENSH_IJLi4EEEEEEENSH_IJLi3ELi4EEEElEESR_SR_Li1ELi256ELi256ELi256ELi128ELi32ELi8ELi8ELi16ELi16ELi8ELi4ENSH_IJLi4ELi64ELi1EEEENSH_IJLi1ELi0ELi2EEEEST_Li2ELi8ELi8ELb0ELi1ESS_ST_ST_Li2ELi8ELi8ELb0ELi1ELi1ELi1ENSH_IJLi1ELi32ELi1ELi8EEEELi4EEEDF16_DF16_S4_S4_S4_NS6_INS7_IJSD_SF_SF_NS_7UnMergeINS7_IJiNSA_IiLi8EEEEEELb0EEESF_EEENS7_IJSI_SJ_SK_SO_SN_EEENS7_IJSM_SN_SO_NSH_IJLi5ELi6EEEENSH_IJLi7EEEEEEENSH_IJLi5ELi7ELi6EEEElEES16_NS6_INS7_IJSD_SF_SF_NSW_INS7_IJiNSA_IiLi256EEEEEELb0EEENSW_INS7_IJiNSA_IiLi128EEEEEELb0EEEEEENS7_IJSI_SJ_SK_SN_SO_EEENS7_IJSM_SN_SO_S12_NSH_IJLi7ELi8EEEEEEENSH_IJLi5ELi6ELi7ELi8EEEElEENS_13TensorAdaptorINS7_IJNSW_ISC_Lb0EEES1K_NS_23Merge_v2_magic_divisionINS7_IJiiSB_SB_EEEEEEEENS7_IJSI_SJ_NSH_IJLi2ELi3ELi4ELi5EEEEEEENS7_IJNSH_IJLi2ELi4EEEENSH_IJLi3ELi5EEEENSH_IJLi6EEEEEEENSH_IJLi0ELi1EEEES1T_EELb0EEEvPKT0_S1Z_PT1_T2_T3_T4_T5_T6_T7_T8_.has_indirect_call, 0
	.section	.AMDGPU.csdata,"",@progbits
; Kernel info:
; codeLenInByte = 4
; TotalNumSgprs: 0
; NumVgprs: 0
; ScratchSize: 0
; MemoryBound: 0
; FloatMode: 240
; IeeeMode: 1
; LDSByteSize: 0 bytes/workgroup (compile time only)
; SGPRBlocks: 0
; VGPRBlocks: 0
; NumSGPRsForWavesPerEU: 1
; NumVGPRsForWavesPerEU: 1
; Occupancy: 16
; WaveLimiterHint : 0
; COMPUTE_PGM_RSRC2:SCRATCH_EN: 0
; COMPUTE_PGM_RSRC2:USER_SGPR: 2
; COMPUTE_PGM_RSRC2:TRAP_HANDLER: 0
; COMPUTE_PGM_RSRC2:TGID_X_EN: 1
; COMPUTE_PGM_RSRC2:TGID_Y_EN: 0
; COMPUTE_PGM_RSRC2:TGID_Z_EN: 0
; COMPUTE_PGM_RSRC2:TIDIG_COMP_CNT: 0
	.section	.text._ZN2ck37kernel_gemm_xdl_waveletmodel_cshuffleINS_53GridwiseGemm_k0mk1_k0nk1_mn_xdl_waveletmodel_cshuffleIDF16_fDF16_DF16_NS_16tensor_operation12element_wise11PassThroughES4_S4_LNS_25InMemoryDataOperationEnumE0ENS_16TensorDescriptorINS_5TupleIJNS_5EmbedINS7_IJiiEEENS7_IJiNS_17integral_constantIiLi1EEEEEELb0EEENS_11PassThroughIiEESF_EEENS7_IJNS_8SequenceIJLi0EEEENSH_IJLi1EEEENSH_IJLi2EEEEEEENS7_IJNSH_IJLi1ELi2EEEENSH_IJLi3EEEENSH_IJLi4EEEEEEENSH_IJLi3ELi4EEEElEESR_SR_Li1ELi256ELi256ELi256ELi128ELi32ELi8ELi8ELi16ELi16ELi8ELi2ENSH_IJLi4ELi64ELi1EEEENSH_IJLi1ELi0ELi2EEEEST_Li2ELi8ELi8ELb0ELi1ESS_ST_ST_Li2ELi8ELi8ELb0ELi1ELi1ELi1ENSH_IJLi1ELi32ELi1ELi8EEEELi4EEEDF16_DF16_S4_S4_S4_NS6_INS7_IJSD_SF_SF_NS_7UnMergeINS7_IJiNSA_IiLi8EEEEEELb0EEESF_EEENS7_IJSI_SJ_SK_SO_SN_EEENS7_IJSM_SN_SO_NSH_IJLi5ELi6EEEENSH_IJLi7EEEEEEENSH_IJLi5ELi7ELi6EEEElEES16_NS6_INS7_IJSD_SF_SF_NSW_INS7_IJiNSA_IiLi256EEEEEELb0EEENSW_INS7_IJiNSA_IiLi128EEEEEELb0EEEEEENS7_IJSI_SJ_SK_SN_SO_EEENS7_IJSM_SN_SO_S12_NSH_IJLi7ELi8EEEEEEENSH_IJLi5ELi6ELi7ELi8EEEElEENS_13TensorAdaptorINS7_IJNSW_ISC_Lb0EEES1K_NS_23Merge_v2_magic_divisionINS7_IJiiSB_SB_EEEEEEEENS7_IJSI_SJ_NSH_IJLi2ELi3ELi4ELi5EEEEEEENS7_IJNSH_IJLi2ELi4EEEENSH_IJLi3ELi5EEEENSH_IJLi6EEEEEEENSH_IJLi0ELi1EEEES1T_EELb1EEEvPKT0_S1Z_PT1_T2_T3_T4_T5_T6_T7_T8_,"axG",@progbits,_ZN2ck37kernel_gemm_xdl_waveletmodel_cshuffleINS_53GridwiseGemm_k0mk1_k0nk1_mn_xdl_waveletmodel_cshuffleIDF16_fDF16_DF16_NS_16tensor_operation12element_wise11PassThroughES4_S4_LNS_25InMemoryDataOperationEnumE0ENS_16TensorDescriptorINS_5TupleIJNS_5EmbedINS7_IJiiEEENS7_IJiNS_17integral_constantIiLi1EEEEEELb0EEENS_11PassThroughIiEESF_EEENS7_IJNS_8SequenceIJLi0EEEENSH_IJLi1EEEENSH_IJLi2EEEEEEENS7_IJNSH_IJLi1ELi2EEEENSH_IJLi3EEEENSH_IJLi4EEEEEEENSH_IJLi3ELi4EEEElEESR_SR_Li1ELi256ELi256ELi256ELi128ELi32ELi8ELi8ELi16ELi16ELi8ELi2ENSH_IJLi4ELi64ELi1EEEENSH_IJLi1ELi0ELi2EEEEST_Li2ELi8ELi8ELb0ELi1ESS_ST_ST_Li2ELi8ELi8ELb0ELi1ELi1ELi1ENSH_IJLi1ELi32ELi1ELi8EEEELi4EEEDF16_DF16_S4_S4_S4_NS6_INS7_IJSD_SF_SF_NS_7UnMergeINS7_IJiNSA_IiLi8EEEEEELb0EEESF_EEENS7_IJSI_SJ_SK_SO_SN_EEENS7_IJSM_SN_SO_NSH_IJLi5ELi6EEEENSH_IJLi7EEEEEEENSH_IJLi5ELi7ELi6EEEElEES16_NS6_INS7_IJSD_SF_SF_NSW_INS7_IJiNSA_IiLi256EEEEEELb0EEENSW_INS7_IJiNSA_IiLi128EEEEEELb0EEEEEENS7_IJSI_SJ_SK_SN_SO_EEENS7_IJSM_SN_SO_S12_NSH_IJLi7ELi8EEEEEEENSH_IJLi5ELi6ELi7ELi8EEEElEENS_13TensorAdaptorINS7_IJNSW_ISC_Lb0EEES1K_NS_23Merge_v2_magic_divisionINS7_IJiiSB_SB_EEEEEEEENS7_IJSI_SJ_NSH_IJLi2ELi3ELi4ELi5EEEEEEENS7_IJNSH_IJLi2ELi4EEEENSH_IJLi3ELi5EEEENSH_IJLi6EEEEEEENSH_IJLi0ELi1EEEES1T_EELb1EEEvPKT0_S1Z_PT1_T2_T3_T4_T5_T6_T7_T8_,comdat
	.protected	_ZN2ck37kernel_gemm_xdl_waveletmodel_cshuffleINS_53GridwiseGemm_k0mk1_k0nk1_mn_xdl_waveletmodel_cshuffleIDF16_fDF16_DF16_NS_16tensor_operation12element_wise11PassThroughES4_S4_LNS_25InMemoryDataOperationEnumE0ENS_16TensorDescriptorINS_5TupleIJNS_5EmbedINS7_IJiiEEENS7_IJiNS_17integral_constantIiLi1EEEEEELb0EEENS_11PassThroughIiEESF_EEENS7_IJNS_8SequenceIJLi0EEEENSH_IJLi1EEEENSH_IJLi2EEEEEEENS7_IJNSH_IJLi1ELi2EEEENSH_IJLi3EEEENSH_IJLi4EEEEEEENSH_IJLi3ELi4EEEElEESR_SR_Li1ELi256ELi256ELi256ELi128ELi32ELi8ELi8ELi16ELi16ELi8ELi2ENSH_IJLi4ELi64ELi1EEEENSH_IJLi1ELi0ELi2EEEEST_Li2ELi8ELi8ELb0ELi1ESS_ST_ST_Li2ELi8ELi8ELb0ELi1ELi1ELi1ENSH_IJLi1ELi32ELi1ELi8EEEELi4EEEDF16_DF16_S4_S4_S4_NS6_INS7_IJSD_SF_SF_NS_7UnMergeINS7_IJiNSA_IiLi8EEEEEELb0EEESF_EEENS7_IJSI_SJ_SK_SO_SN_EEENS7_IJSM_SN_SO_NSH_IJLi5ELi6EEEENSH_IJLi7EEEEEEENSH_IJLi5ELi7ELi6EEEElEES16_NS6_INS7_IJSD_SF_SF_NSW_INS7_IJiNSA_IiLi256EEEEEELb0EEENSW_INS7_IJiNSA_IiLi128EEEEEELb0EEEEEENS7_IJSI_SJ_SK_SN_SO_EEENS7_IJSM_SN_SO_S12_NSH_IJLi7ELi8EEEEEEENSH_IJLi5ELi6ELi7ELi8EEEElEENS_13TensorAdaptorINS7_IJNSW_ISC_Lb0EEES1K_NS_23Merge_v2_magic_divisionINS7_IJiiSB_SB_EEEEEEEENS7_IJSI_SJ_NSH_IJLi2ELi3ELi4ELi5EEEEEEENS7_IJNSH_IJLi2ELi4EEEENSH_IJLi3ELi5EEEENSH_IJLi6EEEEEEENSH_IJLi0ELi1EEEES1T_EELb1EEEvPKT0_S1Z_PT1_T2_T3_T4_T5_T6_T7_T8_ ; -- Begin function _ZN2ck37kernel_gemm_xdl_waveletmodel_cshuffleINS_53GridwiseGemm_k0mk1_k0nk1_mn_xdl_waveletmodel_cshuffleIDF16_fDF16_DF16_NS_16tensor_operation12element_wise11PassThroughES4_S4_LNS_25InMemoryDataOperationEnumE0ENS_16TensorDescriptorINS_5TupleIJNS_5EmbedINS7_IJiiEEENS7_IJiNS_17integral_constantIiLi1EEEEEELb0EEENS_11PassThroughIiEESF_EEENS7_IJNS_8SequenceIJLi0EEEENSH_IJLi1EEEENSH_IJLi2EEEEEEENS7_IJNSH_IJLi1ELi2EEEENSH_IJLi3EEEENSH_IJLi4EEEEEEENSH_IJLi3ELi4EEEElEESR_SR_Li1ELi256ELi256ELi256ELi128ELi32ELi8ELi8ELi16ELi16ELi8ELi2ENSH_IJLi4ELi64ELi1EEEENSH_IJLi1ELi0ELi2EEEEST_Li2ELi8ELi8ELb0ELi1ESS_ST_ST_Li2ELi8ELi8ELb0ELi1ELi1ELi1ENSH_IJLi1ELi32ELi1ELi8EEEELi4EEEDF16_DF16_S4_S4_S4_NS6_INS7_IJSD_SF_SF_NS_7UnMergeINS7_IJiNSA_IiLi8EEEEEELb0EEESF_EEENS7_IJSI_SJ_SK_SO_SN_EEENS7_IJSM_SN_SO_NSH_IJLi5ELi6EEEENSH_IJLi7EEEEEEENSH_IJLi5ELi7ELi6EEEElEES16_NS6_INS7_IJSD_SF_SF_NSW_INS7_IJiNSA_IiLi256EEEEEELb0EEENSW_INS7_IJiNSA_IiLi128EEEEEELb0EEEEEENS7_IJSI_SJ_SK_SN_SO_EEENS7_IJSM_SN_SO_S12_NSH_IJLi7ELi8EEEEEEENSH_IJLi5ELi6ELi7ELi8EEEElEENS_13TensorAdaptorINS7_IJNSW_ISC_Lb0EEES1K_NS_23Merge_v2_magic_divisionINS7_IJiiSB_SB_EEEEEEEENS7_IJSI_SJ_NSH_IJLi2ELi3ELi4ELi5EEEEEEENS7_IJNSH_IJLi2ELi4EEEENSH_IJLi3ELi5EEEENSH_IJLi6EEEEEEENSH_IJLi0ELi1EEEES1T_EELb1EEEvPKT0_S1Z_PT1_T2_T3_T4_T5_T6_T7_T8_
	.globl	_ZN2ck37kernel_gemm_xdl_waveletmodel_cshuffleINS_53GridwiseGemm_k0mk1_k0nk1_mn_xdl_waveletmodel_cshuffleIDF16_fDF16_DF16_NS_16tensor_operation12element_wise11PassThroughES4_S4_LNS_25InMemoryDataOperationEnumE0ENS_16TensorDescriptorINS_5TupleIJNS_5EmbedINS7_IJiiEEENS7_IJiNS_17integral_constantIiLi1EEEEEELb0EEENS_11PassThroughIiEESF_EEENS7_IJNS_8SequenceIJLi0EEEENSH_IJLi1EEEENSH_IJLi2EEEEEEENS7_IJNSH_IJLi1ELi2EEEENSH_IJLi3EEEENSH_IJLi4EEEEEEENSH_IJLi3ELi4EEEElEESR_SR_Li1ELi256ELi256ELi256ELi128ELi32ELi8ELi8ELi16ELi16ELi8ELi2ENSH_IJLi4ELi64ELi1EEEENSH_IJLi1ELi0ELi2EEEEST_Li2ELi8ELi8ELb0ELi1ESS_ST_ST_Li2ELi8ELi8ELb0ELi1ELi1ELi1ENSH_IJLi1ELi32ELi1ELi8EEEELi4EEEDF16_DF16_S4_S4_S4_NS6_INS7_IJSD_SF_SF_NS_7UnMergeINS7_IJiNSA_IiLi8EEEEEELb0EEESF_EEENS7_IJSI_SJ_SK_SO_SN_EEENS7_IJSM_SN_SO_NSH_IJLi5ELi6EEEENSH_IJLi7EEEEEEENSH_IJLi5ELi7ELi6EEEElEES16_NS6_INS7_IJSD_SF_SF_NSW_INS7_IJiNSA_IiLi256EEEEEELb0EEENSW_INS7_IJiNSA_IiLi128EEEEEELb0EEEEEENS7_IJSI_SJ_SK_SN_SO_EEENS7_IJSM_SN_SO_S12_NSH_IJLi7ELi8EEEEEEENSH_IJLi5ELi6ELi7ELi8EEEElEENS_13TensorAdaptorINS7_IJNSW_ISC_Lb0EEES1K_NS_23Merge_v2_magic_divisionINS7_IJiiSB_SB_EEEEEEEENS7_IJSI_SJ_NSH_IJLi2ELi3ELi4ELi5EEEEEEENS7_IJNSH_IJLi2ELi4EEEENSH_IJLi3ELi5EEEENSH_IJLi6EEEEEEENSH_IJLi0ELi1EEEES1T_EELb1EEEvPKT0_S1Z_PT1_T2_T3_T4_T5_T6_T7_T8_
	.p2align	8
	.type	_ZN2ck37kernel_gemm_xdl_waveletmodel_cshuffleINS_53GridwiseGemm_k0mk1_k0nk1_mn_xdl_waveletmodel_cshuffleIDF16_fDF16_DF16_NS_16tensor_operation12element_wise11PassThroughES4_S4_LNS_25InMemoryDataOperationEnumE0ENS_16TensorDescriptorINS_5TupleIJNS_5EmbedINS7_IJiiEEENS7_IJiNS_17integral_constantIiLi1EEEEEELb0EEENS_11PassThroughIiEESF_EEENS7_IJNS_8SequenceIJLi0EEEENSH_IJLi1EEEENSH_IJLi2EEEEEEENS7_IJNSH_IJLi1ELi2EEEENSH_IJLi3EEEENSH_IJLi4EEEEEEENSH_IJLi3ELi4EEEElEESR_SR_Li1ELi256ELi256ELi256ELi128ELi32ELi8ELi8ELi16ELi16ELi8ELi2ENSH_IJLi4ELi64ELi1EEEENSH_IJLi1ELi0ELi2EEEEST_Li2ELi8ELi8ELb0ELi1ESS_ST_ST_Li2ELi8ELi8ELb0ELi1ELi1ELi1ENSH_IJLi1ELi32ELi1ELi8EEEELi4EEEDF16_DF16_S4_S4_S4_NS6_INS7_IJSD_SF_SF_NS_7UnMergeINS7_IJiNSA_IiLi8EEEEEELb0EEESF_EEENS7_IJSI_SJ_SK_SO_SN_EEENS7_IJSM_SN_SO_NSH_IJLi5ELi6EEEENSH_IJLi7EEEEEEENSH_IJLi5ELi7ELi6EEEElEES16_NS6_INS7_IJSD_SF_SF_NSW_INS7_IJiNSA_IiLi256EEEEEELb0EEENSW_INS7_IJiNSA_IiLi128EEEEEELb0EEEEEENS7_IJSI_SJ_SK_SN_SO_EEENS7_IJSM_SN_SO_S12_NSH_IJLi7ELi8EEEEEEENSH_IJLi5ELi6ELi7ELi8EEEElEENS_13TensorAdaptorINS7_IJNSW_ISC_Lb0EEES1K_NS_23Merge_v2_magic_divisionINS7_IJiiSB_SB_EEEEEEEENS7_IJSI_SJ_NSH_IJLi2ELi3ELi4ELi5EEEEEEENS7_IJNSH_IJLi2ELi4EEEENSH_IJLi3ELi5EEEENSH_IJLi6EEEEEEENSH_IJLi0ELi1EEEES1T_EELb1EEEvPKT0_S1Z_PT1_T2_T3_T4_T5_T6_T7_T8_,@function
_ZN2ck37kernel_gemm_xdl_waveletmodel_cshuffleINS_53GridwiseGemm_k0mk1_k0nk1_mn_xdl_waveletmodel_cshuffleIDF16_fDF16_DF16_NS_16tensor_operation12element_wise11PassThroughES4_S4_LNS_25InMemoryDataOperationEnumE0ENS_16TensorDescriptorINS_5TupleIJNS_5EmbedINS7_IJiiEEENS7_IJiNS_17integral_constantIiLi1EEEEEELb0EEENS_11PassThroughIiEESF_EEENS7_IJNS_8SequenceIJLi0EEEENSH_IJLi1EEEENSH_IJLi2EEEEEEENS7_IJNSH_IJLi1ELi2EEEENSH_IJLi3EEEENSH_IJLi4EEEEEEENSH_IJLi3ELi4EEEElEESR_SR_Li1ELi256ELi256ELi256ELi128ELi32ELi8ELi8ELi16ELi16ELi8ELi2ENSH_IJLi4ELi64ELi1EEEENSH_IJLi1ELi0ELi2EEEEST_Li2ELi8ELi8ELb0ELi1ESS_ST_ST_Li2ELi8ELi8ELb0ELi1ELi1ELi1ENSH_IJLi1ELi32ELi1ELi8EEEELi4EEEDF16_DF16_S4_S4_S4_NS6_INS7_IJSD_SF_SF_NS_7UnMergeINS7_IJiNSA_IiLi8EEEEEELb0EEESF_EEENS7_IJSI_SJ_SK_SO_SN_EEENS7_IJSM_SN_SO_NSH_IJLi5ELi6EEEENSH_IJLi7EEEEEEENSH_IJLi5ELi7ELi6EEEElEES16_NS6_INS7_IJSD_SF_SF_NSW_INS7_IJiNSA_IiLi256EEEEEELb0EEENSW_INS7_IJiNSA_IiLi128EEEEEELb0EEEEEENS7_IJSI_SJ_SK_SN_SO_EEENS7_IJSM_SN_SO_S12_NSH_IJLi7ELi8EEEEEEENSH_IJLi5ELi6ELi7ELi8EEEElEENS_13TensorAdaptorINS7_IJNSW_ISC_Lb0EEES1K_NS_23Merge_v2_magic_divisionINS7_IJiiSB_SB_EEEEEEEENS7_IJSI_SJ_NSH_IJLi2ELi3ELi4ELi5EEEEEEENS7_IJNSH_IJLi2ELi4EEEENSH_IJLi3ELi5EEEENSH_IJLi6EEEEEEENSH_IJLi0ELi1EEEES1T_EELb1EEEvPKT0_S1Z_PT1_T2_T3_T4_T5_T6_T7_T8_: ; @_ZN2ck37kernel_gemm_xdl_waveletmodel_cshuffleINS_53GridwiseGemm_k0mk1_k0nk1_mn_xdl_waveletmodel_cshuffleIDF16_fDF16_DF16_NS_16tensor_operation12element_wise11PassThroughES4_S4_LNS_25InMemoryDataOperationEnumE0ENS_16TensorDescriptorINS_5TupleIJNS_5EmbedINS7_IJiiEEENS7_IJiNS_17integral_constantIiLi1EEEEEELb0EEENS_11PassThroughIiEESF_EEENS7_IJNS_8SequenceIJLi0EEEENSH_IJLi1EEEENSH_IJLi2EEEEEEENS7_IJNSH_IJLi1ELi2EEEENSH_IJLi3EEEENSH_IJLi4EEEEEEENSH_IJLi3ELi4EEEElEESR_SR_Li1ELi256ELi256ELi256ELi128ELi32ELi8ELi8ELi16ELi16ELi8ELi2ENSH_IJLi4ELi64ELi1EEEENSH_IJLi1ELi0ELi2EEEEST_Li2ELi8ELi8ELb0ELi1ESS_ST_ST_Li2ELi8ELi8ELb0ELi1ELi1ELi1ENSH_IJLi1ELi32ELi1ELi8EEEELi4EEEDF16_DF16_S4_S4_S4_NS6_INS7_IJSD_SF_SF_NS_7UnMergeINS7_IJiNSA_IiLi8EEEEEELb0EEESF_EEENS7_IJSI_SJ_SK_SO_SN_EEENS7_IJSM_SN_SO_NSH_IJLi5ELi6EEEENSH_IJLi7EEEEEEENSH_IJLi5ELi7ELi6EEEElEES16_NS6_INS7_IJSD_SF_SF_NSW_INS7_IJiNSA_IiLi256EEEEEELb0EEENSW_INS7_IJiNSA_IiLi128EEEEEELb0EEEEEENS7_IJSI_SJ_SK_SN_SO_EEENS7_IJSM_SN_SO_S12_NSH_IJLi7ELi8EEEEEEENSH_IJLi5ELi6ELi7ELi8EEEElEENS_13TensorAdaptorINS7_IJNSW_ISC_Lb0EEES1K_NS_23Merge_v2_magic_divisionINS7_IJiiSB_SB_EEEEEEEENS7_IJSI_SJ_NSH_IJLi2ELi3ELi4ELi5EEEEEEENS7_IJNSH_IJLi2ELi4EEEENSH_IJLi3ELi5EEEENSH_IJLi6EEEEEEENSH_IJLi0ELi1EEEES1T_EELb1EEEvPKT0_S1Z_PT1_T2_T3_T4_T5_T6_T7_T8_
; %bb.0:
	s_clause 0x3
	s_load_b32 s2, s[0:1], 0x38
	s_load_b32 s3, s[0:1], 0xf8
	;; [unrolled: 1-line block ×4, first 2 shown]
	s_wait_kmcnt 0x0
	s_ashr_i32 s6, s2, 31
	s_mul_hi_u32 s3, s3, ttmp9
	s_lshr_b32 s6, s6, 30
	s_add_co_i32 s3, ttmp9, s3
	s_add_co_i32 s2, s2, s6
	s_lshr_b32 s8, s3, s4
	s_ashr_i32 s12, s2, 2
	s_mul_i32 s3, s8, s5
	s_mov_b32 s2, exec_lo
	s_sub_co_i32 s13, ttmp9, s3
	v_cmpx_gt_u32_e32 0x100, v0
	s_xor_b32 s9, exec_lo, s2
	s_cbranch_execnz .LBB3_3
; %bb.1:
	s_and_not1_saveexec_b32 s2, s9
	s_cbranch_execnz .LBB3_6
.LBB3_2:
	s_nop 0
	s_sendmsg sendmsg(MSG_DEALLOC_VGPRS)
	s_endpgm
.LBB3_3:
	v_lshrrev_b32_e32 v141, 1, v0
	s_clause 0x2
	s_load_b64 s[4:5], s[0:1], 0x10
	s_load_b32 s10, s[0:1], 0x98
	s_load_b64 s[2:3], s[0:1], 0xc8
	v_lshrrev_b32_e32 v145, 3, v0
	v_dual_mov_b32 v9, 0 :: v_dual_and_b32 v146, 15, v0
	v_and_b32_e32 v1, 0x80, v0
	v_and_b32_e32 v148, 48, v141
	s_delay_alu instid0(VALU_DEP_4)
	v_and_b32_e32 v2, 2, v145
	s_wait_kmcnt 0x0
	s_max_i32 s3, s12, 2
	v_dual_mov_b32 v10, v9 :: v_dual_lshlrev_b32 v1, 1, v1
	v_dual_mov_b32 v12, v9 :: v_dual_mov_b32 v13, v9
	v_or_b32_e32 v3, v148, v146
	v_mov_b32_e32 v11, v9
	s_delay_alu instid0(VALU_DEP_4) | instskip(SKIP_4) | instid1(VALU_DEP_4)
	v_lshl_or_b32 v1, v146, 4, v1
	v_mul_u32_u24_e32 v4, 0x1010, v2
	v_mul_u32_u24_e32 v2, 0x810, v2
	v_dual_mov_b32 v14, v9 :: v_dual_lshlrev_b32 v3, 4, v3
	v_mov_b32_e32 v15, v9
	v_add_nc_u32_e32 v147, v1, v4
	v_dual_mov_b32 v16, v9 :: v_dual_mov_b32 v1, v9
	s_delay_alu instid0(VALU_DEP_4)
	v_add_nc_u32_e32 v142, v3, v2
	v_dual_mov_b32 v2, v9 :: v_dual_mov_b32 v3, v9
	v_dual_mov_b32 v4, v9 :: v_dual_mov_b32 v5, v9
	;; [unrolled: 1-line block ×59, first 2 shown]
	v_mov_b32_e32 v128, v9
	s_add_co_i32 s3, s3, -1
.LBB3_4:                                ; =>This Inner Loop Header: Depth=1
	s_wait_dscnt 0x0
	s_barrier_signal -1
	s_barrier_wait -1
	ds_load_b128 v[129:132], v147
	ds_load_b128 v[133:136], v142 offset:16432
	ds_load_b128 v[137:140], v142 offset:17456
	;; [unrolled: 1-line block ×14, first 2 shown]
	s_add_co_i32 s3, s3, -1
	s_delay_alu instid0(SALU_CYCLE_1)
	s_cmp_lg_u32 s3, 0
	s_wait_dscnt 0xd
	v_wmma_f32_16x16x16_f16 v[121:128], v[129:132], v[133:136], v[121:128]
	s_wait_dscnt 0xc
	v_wmma_f32_16x16x16_f16 v[113:120], v[129:132], v[137:140], v[113:120]
	;; [unrolled: 2-line block ×3, first 2 shown]
	v_wmma_f32_16x16x16_f16 v[105:112], v[149:152], v[137:140], v[105:112]
	s_wait_dscnt 0xa
	v_wmma_f32_16x16x16_f16 v[89:96], v[153:156], v[133:136], v[89:96]
	ds_load_b128 v[129:132], v147 offset:4624
	ds_load_b128 v[149:152], v147 offset:5136
	v_wmma_f32_16x16x16_f16 v[81:88], v[153:156], v[137:140], v[81:88]
	s_wait_dscnt 0xb
	v_wmma_f32_16x16x16_f16 v[65:72], v[157:160], v[133:136], v[65:72]
	ds_load_b128 v[153:156], v147 offset:5648
	v_wmma_f32_16x16x16_f16 v[73:80], v[157:160], v[137:140], v[73:80]
	ds_load_b128 v[157:160], v147 offset:6160
	s_wait_dscnt 0xc
	v_wmma_f32_16x16x16_f16 v[57:64], v[161:164], v[133:136], v[57:64]
	v_wmma_f32_16x16x16_f16 v[49:56], v[161:164], v[137:140], v[49:56]
	ds_load_b128 v[161:164], v147 offset:7184
	s_wait_dscnt 0xc
	v_wmma_f32_16x16x16_f16 v[33:40], v[165:168], v[133:136], v[33:40]
	v_wmma_f32_16x16x16_f16 v[41:48], v[165:168], v[137:140], v[41:48]
	s_wait_dscnt 0xb
	v_wmma_f32_16x16x16_f16 v[25:32], v[169:172], v[133:136], v[25:32]
	v_wmma_f32_16x16x16_f16 v[17:24], v[169:172], v[137:140], v[17:24]
	s_wait_dscnt 0xa
	v_wmma_f32_16x16x16_f16 v[1:8], v[173:176], v[133:136], v[1:8]
	v_wmma_f32_16x16x16_f16 v[9:16], v[173:176], v[137:140], v[9:16]
	s_wait_dscnt 0x8
	v_wmma_f32_16x16x16_f16 v[121:128], v[177:180], v[181:184], v[121:128]
	s_wait_dscnt 0x7
	v_wmma_f32_16x16x16_f16 v[113:120], v[177:180], v[185:188], v[113:120]
	;; [unrolled: 2-line block ×3, first 2 shown]
	v_wmma_f32_16x16x16_f16 v[41:48], v[189:192], v[185:188], v[41:48]
	s_wait_dscnt 0x4
	v_wmma_f32_16x16x16_f16 v[97:104], v[129:132], v[181:184], v[97:104]
	v_wmma_f32_16x16x16_f16 v[105:112], v[129:132], v[185:188], v[105:112]
	s_wait_dscnt 0x3
	v_wmma_f32_16x16x16_f16 v[89:96], v[149:152], v[181:184], v[89:96]
	;; [unrolled: 3-line block ×4, first 2 shown]
	v_wmma_f32_16x16x16_f16 v[49:56], v[157:160], v[185:188], v[49:56]
	v_wmma_f32_16x16x16_f16 v[1:8], v[193:196], v[181:184], v[1:8]
	s_wait_dscnt 0x0
	v_wmma_f32_16x16x16_f16 v[25:32], v[161:164], v[181:184], v[25:32]
	v_wmma_f32_16x16x16_f16 v[17:24], v[161:164], v[185:188], v[17:24]
	;; [unrolled: 1-line block ×3, first 2 shown]
	s_wait_dscnt 0x0
	s_barrier_signal -1
	s_barrier_wait -1
	s_cbranch_scc1 .LBB3_4
; %bb.5:
	s_wait_dscnt 0x0
	s_barrier_signal -1
	s_barrier_wait -1
	ds_load_b128 v[149:152], v147
	ds_load_b128 v[129:132], v142 offset:16432
	ds_load_b128 v[153:156], v147 offset:4112
	;; [unrolled: 1-line block ×4, first 2 shown]
	v_and_b32_e32 v141, 8, v141
	v_lshlrev_b32_e32 v0, 3, v0
	ds_load_b128 v[157:160], v147 offset:512
	s_lshl_b32 s6, s2, 1
	s_and_b32 s5, s5, 0xffff
	v_and_or_b32 v165, v145, 16, v141
	v_and_b32_e32 v205, 56, v0
	ds_load_b128 v[141:144], v142 offset:19520
	ds_load_b128 v[161:164], v147 offset:4624
	s_mov_b32 s7, 0x31004000
	s_lshl_b32 s2, s10, 5
	v_lshlrev_b32_e32 v173, 7, v165
	ds_load_b128 v[165:168], v147 offset:1024
	ds_load_b128 v[169:172], v147 offset:1536
	v_lshl_or_b32 v0, v148, 1, v173
	s_wait_dscnt 0x8
	v_wmma_f32_16x16x16_f16 v[121:128], v[149:152], v[129:132], v[121:128]
	s_wait_dscnt 0x5
	v_wmma_f32_16x16x16_f16 v[113:120], v[149:152], v[137:140], v[113:120]
	v_lshl_add_u32 v0, v146, 1, v0
	s_delay_alu instid0(VALU_DEP_3)
	v_wmma_f32_16x16x16_f16 v[121:128], v[153:156], v[133:136], v[121:128]
	v_lshlrev_b32_e32 v146, 1, v205
	ds_load_b128 v[148:151], v147 offset:5136
	ds_load_b128 v[173:176], v147 offset:5648
	s_wait_dscnt 0x6
	v_wmma_f32_16x16x16_f16 v[105:112], v[157:160], v[137:140], v[105:112]
	v_wmma_f32_16x16x16_f16 v[97:104], v[157:160], v[129:132], v[97:104]
	v_cvt_f16_f32_e64 v152, v121
	v_lshl_or_b32 v146, v145, 7, v146
	v_cvt_f16_f32_e64 v201, v122
	v_cvt_f16_f32_e64 v202, v123
	;; [unrolled: 1-line block ×7, first 2 shown]
	ds_load_b128 v[177:180], v147 offset:2048
	ds_load_b128 v[181:184], v147 offset:2560
	;; [unrolled: 1-line block ×8, first 2 shown]
	s_wait_dscnt 0x0
	s_barrier_signal -1
	s_barrier_wait -1
	ds_store_b16 v0, v152
	ds_store_b16 v0, v201 offset:128
	ds_store_b16 v0, v202 offset:256
	;; [unrolled: 1-line block ×7, first 2 shown]
	s_wait_dscnt 0x0
	s_barrier_signal -1
	s_barrier_wait -1
	ds_load_b128 v[201:204], v146
	v_lshl_or_b32 v147, s8, 8, v145
	v_lshl_or_b32 v145, s13, 7, v205
	v_wmma_f32_16x16x16_f16 v[113:120], v[153:156], v[141:144], v[113:120]
	v_wmma_f32_16x16x16_f16 v[105:112], v[161:164], v[141:144], v[105:112]
	;; [unrolled: 1-line block ×4, first 2 shown]
	v_mad_co_u64_u32 v[152:153], null, v147, s10, v[145:146]
	v_cvt_f16_f32_e32 v113, v113
	v_cvt_f16_f32_e32 v114, v114
	;; [unrolled: 1-line block ×6, first 2 shown]
	v_lshlrev_b32_e32 v145, 1, v152
	v_cvt_f16_f32_e32 v119, v119
	v_cvt_f16_f32_e32 v120, v120
	;; [unrolled: 1-line block ×4, first 2 shown]
	s_wait_dscnt 0x0
	buffer_store_b128 v[201:204], v145, s[4:7], null offen
	s_wait_dscnt 0x0
	s_barrier_signal -1
	s_barrier_wait -1
	ds_store_b16 v0, v113
	ds_store_b16 v0, v114 offset:128
	ds_store_b16 v0, v115 offset:256
	;; [unrolled: 1-line block ×7, first 2 shown]
	s_wait_dscnt 0x0
	s_barrier_signal -1
	s_barrier_wait -1
	ds_load_b128 v[113:116], v146
	v_add_nc_u32_e32 v117, 64, v152
	v_cvt_f16_f32_e32 v107, v107
	v_cvt_f16_f32_e32 v108, v108
	;; [unrolled: 1-line block ×4, first 2 shown]
	v_lshlrev_b32_e32 v118, 1, v117
	v_cvt_f16_f32_e32 v111, v111
	v_cvt_f16_f32_e32 v112, v112
	s_wait_dscnt 0x0
	s_clause 0x1
	buffer_store_b64 v[113:114], v118, s[4:7], null offen
	buffer_store_b64 v[115:116], v145, s[4:7], null offen offset:136
	s_wait_dscnt 0x0
	s_barrier_signal -1
	s_barrier_wait -1
	ds_store_b16 v0, v105
	ds_store_b16 v0, v106 offset:128
	ds_store_b16 v0, v107 offset:256
	;; [unrolled: 1-line block ×7, first 2 shown]
	s_wait_dscnt 0x0
	s_barrier_signal -1
	s_barrier_wait -1
	ds_load_b128 v[105:108], v146
	v_cvt_f16_f32_e32 v97, v97
	v_add_lshl_u32 v109, v117, s2, 1
	v_cvt_f16_f32_e32 v98, v98
	v_cvt_f16_f32_e32 v99, v99
	;; [unrolled: 1-line block ×7, first 2 shown]
	v_wmma_f32_16x16x16_f16 v[89:96], v[148:151], v[133:136], v[89:96]
	v_wmma_f32_16x16x16_f16 v[81:88], v[165:168], v[137:140], v[81:88]
	;; [unrolled: 1-line block ×5, first 2 shown]
	v_cvt_f16_f32_e32 v89, v89
	v_cvt_f16_f32_e32 v90, v90
	;; [unrolled: 1-line block ×5, first 2 shown]
	s_wait_dscnt 0x0
	buffer_store_b128 v[105:108], v109, s[4:7], null offen
	s_wait_dscnt 0x0
	s_barrier_signal -1
	s_barrier_wait -1
	ds_store_b16 v0, v97
	ds_store_b16 v0, v98 offset:128
	ds_store_b16 v0, v99 offset:256
	;; [unrolled: 1-line block ×7, first 2 shown]
	s_wait_dscnt 0x0
	s_barrier_signal -1
	s_barrier_wait -1
	ds_load_b128 v[97:100], v146
	v_add_nc_u32_e32 v101, s2, v152
	v_cvt_f16_f32_e32 v94, v94
	v_cvt_f16_f32_e32 v95, v95
	;; [unrolled: 1-line block ×3, first 2 shown]
	v_wmma_f32_16x16x16_f16 v[81:88], v[148:151], v[141:144], v[81:88]
	v_lshlrev_b32_e32 v102, 1, v101
	v_wmma_f32_16x16x16_f16 v[73:80], v[173:176], v[141:144], v[73:80]
	v_wmma_f32_16x16x16_f16 v[65:72], v[173:176], v[133:136], v[65:72]
	;; [unrolled: 1-line block ×3, first 2 shown]
	v_cvt_f16_f32_e32 v81, v81
	v_cvt_f16_f32_e32 v82, v82
	;; [unrolled: 1-line block ×10, first 2 shown]
	s_wait_dscnt 0x0
	buffer_store_b128 v[97:100], v102, s[4:7], null offen
	s_wait_dscnt 0x0
	s_barrier_signal -1
	s_barrier_wait -1
	ds_store_b16 v0, v89
	ds_store_b16 v0, v90 offset:128
	ds_store_b16 v0, v91 offset:256
	;; [unrolled: 1-line block ×7, first 2 shown]
	s_wait_dscnt 0x0
	s_barrier_signal -1
	s_barrier_wait -1
	ds_load_b128 v[89:92], v146
	v_add_nc_u32_e32 v93, s2, v101
	v_cvt_f16_f32_e32 v75, v75
	v_cvt_f16_f32_e32 v76, v76
	;; [unrolled: 1-line block ×4, first 2 shown]
	v_lshlrev_b32_e32 v94, 1, v93
	v_cvt_f16_f32_e32 v79, v79
	v_cvt_f16_f32_e32 v80, v80
	;; [unrolled: 1-line block ×13, first 2 shown]
	s_wait_dscnt 0x0
	buffer_store_b128 v[89:92], v94, s[4:7], null offen
	s_wait_dscnt 0x0
	s_barrier_signal -1
	s_barrier_wait -1
	ds_store_b16 v0, v81
	ds_store_b16 v0, v82 offset:128
	ds_store_b16 v0, v83 offset:256
	;; [unrolled: 1-line block ×7, first 2 shown]
	s_wait_dscnt 0x0
	s_barrier_signal -1
	s_barrier_wait -1
	ds_load_b128 v[81:84], v146
	v_add_nc_u32_e32 v85, 64, v93
	v_cvt_f16_f32_e32 v60, v60
	v_cvt_f16_f32_e32 v61, v61
	;; [unrolled: 1-line block ×4, first 2 shown]
	v_lshlrev_b32_e32 v86, 1, v85
	s_wait_dscnt 0x0
	s_clause 0x1
	buffer_store_b64 v[81:82], v86, s[4:7], null offen
	buffer_store_b64 v[83:84], v94, s[4:7], null offen offset:136
	s_wait_dscnt 0x0
	s_barrier_signal -1
	s_barrier_wait -1
	ds_store_b16 v0, v73
	ds_store_b16 v0, v74 offset:128
	ds_store_b16 v0, v75 offset:256
	;; [unrolled: 1-line block ×7, first 2 shown]
	s_wait_dscnt 0x0
	s_barrier_signal -1
	s_barrier_wait -1
	ds_load_b128 v[73:76], v146
	v_add_lshl_u32 v77, v85, s2, 1
	v_cvt_f16_f32_e32 v64, v64
	v_wmma_f32_16x16x16_f16 v[49:56], v[177:180], v[137:140], v[49:56]
	v_wmma_f32_16x16x16_f16 v[41:48], v[181:184], v[137:140], v[41:48]
	;; [unrolled: 1-line block ×10, first 2 shown]
	v_cvt_f16_f32_e32 v49, v49
	v_cvt_f16_f32_e32 v50, v50
	;; [unrolled: 1-line block ×7, first 2 shown]
	s_wait_dscnt 0x0
	buffer_store_b128 v[73:76], v77, s[4:7], null offen
	s_wait_dscnt 0x0
	s_barrier_signal -1
	s_barrier_wait -1
	ds_store_b16 v0, v65
	ds_store_b16 v0, v66 offset:128
	ds_store_b16 v0, v67 offset:256
	;; [unrolled: 1-line block ×7, first 2 shown]
	s_wait_dscnt 0x0
	s_barrier_signal -1
	s_barrier_wait -1
	ds_load_b128 v[65:68], v146
	v_add_nc_u32_e32 v69, s2, v93
	v_cvt_f16_f32_e32 v56, v56
	v_cvt_f16_f32_e32 v41, v41
	;; [unrolled: 1-line block ×4, first 2 shown]
	v_lshlrev_b32_e32 v70, 1, v69
	v_cvt_f16_f32_e32 v44, v44
	v_cvt_f16_f32_e32 v45, v45
	v_cvt_f16_f32_e32 v46, v46
	v_cvt_f16_f32_e32 v47, v47
	v_cvt_f16_f32_e32 v48, v48
	v_cvt_f16_f32_e32 v33, v33
	v_cvt_f16_f32_e32 v34, v34
	v_cvt_f16_f32_e32 v35, v35
	v_cvt_f16_f32_e32 v36, v36
	v_cvt_f16_f32_e32 v37, v37
	v_cvt_f16_f32_e32 v38, v38
	v_cvt_f16_f32_e32 v39, v39
	v_cvt_f16_f32_e32 v40, v40
	s_wait_dscnt 0x0
	buffer_store_b128 v[65:68], v70, s[4:7], null offen
	s_wait_dscnt 0x0
	s_barrier_signal -1
	s_barrier_wait -1
	ds_store_b16 v0, v57
	ds_store_b16 v0, v58 offset:128
	ds_store_b16 v0, v59 offset:256
	;; [unrolled: 1-line block ×7, first 2 shown]
	s_wait_dscnt 0x0
	s_barrier_signal -1
	s_barrier_wait -1
	ds_load_b128 v[57:60], v146
	v_add_nc_u32_e32 v61, s2, v69
	v_cvt_f16_f32_e32 v25, v25
	v_cvt_f16_f32_e32 v26, v26
	;; [unrolled: 1-line block ×4, first 2 shown]
	v_lshlrev_b32_e32 v62, 1, v61
	v_cvt_f16_f32_e32 v29, v29
	v_cvt_f16_f32_e32 v30, v30
	;; [unrolled: 1-line block ×12, first 2 shown]
	v_wmma_f32_16x16x16_f16 v[9:16], v[121:124], v[137:140], v[9:16]
	s_wait_dscnt 0x0
	buffer_store_b128 v[57:60], v62, s[4:7], null offen
	s_wait_dscnt 0x0
	s_barrier_signal -1
	s_barrier_wait -1
	ds_store_b16 v0, v49
	ds_store_b16 v0, v50 offset:128
	ds_store_b16 v0, v51 offset:256
	;; [unrolled: 1-line block ×7, first 2 shown]
	s_wait_dscnt 0x0
	s_barrier_signal -1
	s_barrier_wait -1
	ds_load_b128 v[49:52], v146
	v_add_nc_u32_e32 v53, 64, v61
	v_wmma_f32_16x16x16_f16 v[9:16], v[125:128], v[141:144], v[9:16]
	v_wmma_f32_16x16x16_f16 v[1:8], v[121:124], v[129:132], v[1:8]
	s_delay_alu instid0(VALU_DEP_3)
	v_lshlrev_b32_e32 v54, 1, v53
	s_wait_dscnt 0x0
	s_clause 0x1
	buffer_store_b64 v[49:50], v54, s[4:7], null offen
	buffer_store_b64 v[51:52], v62, s[4:7], null offen offset:136
	s_wait_dscnt 0x0
	s_barrier_signal -1
	s_barrier_wait -1
	ds_store_b16 v0, v41
	ds_store_b16 v0, v42 offset:128
	ds_store_b16 v0, v43 offset:256
	;; [unrolled: 1-line block ×7, first 2 shown]
	s_wait_dscnt 0x0
	s_barrier_signal -1
	s_barrier_wait -1
	ds_load_b128 v[41:44], v146
	v_add_lshl_u32 v45, v53, s2, 1
	v_cvt_f16_f32_e32 v9, v9
	v_cvt_f16_f32_e32 v10, v10
	;; [unrolled: 1-line block ×8, first 2 shown]
	v_wmma_f32_16x16x16_f16 v[1:8], v[125:128], v[133:136], v[1:8]
	s_delay_alu instid0(VALU_DEP_1) | instskip(NEXT) | instid1(VALU_DEP_2)
	v_cvt_f16_f32_e32 v1, v1
	v_cvt_f16_f32_e32 v2, v2
	s_delay_alu instid0(VALU_DEP_3) | instskip(NEXT) | instid1(VALU_DEP_4)
	v_cvt_f16_f32_e32 v3, v3
	v_cvt_f16_f32_e32 v4, v4
	v_cvt_f16_f32_e32 v5, v5
	s_wait_dscnt 0x0
	buffer_store_b128 v[41:44], v45, s[4:7], null offen
	s_wait_dscnt 0x0
	s_barrier_signal -1
	s_barrier_wait -1
	ds_store_b16 v0, v33
	ds_store_b16 v0, v34 offset:128
	ds_store_b16 v0, v35 offset:256
	;; [unrolled: 1-line block ×7, first 2 shown]
	s_wait_dscnt 0x0
	s_barrier_signal -1
	s_barrier_wait -1
	ds_load_b128 v[33:36], v146
	v_add_nc_u32_e32 v37, s2, v61
	v_cvt_f16_f32_e32 v6, v6
	v_cvt_f16_f32_e32 v7, v7
	v_cvt_f16_f32_e32 v8, v8
	s_delay_alu instid0(VALU_DEP_4)
	v_lshlrev_b32_e32 v38, 1, v37
	s_wait_dscnt 0x0
	buffer_store_b128 v[33:36], v38, s[4:7], null offen
	s_wait_dscnt 0x0
	s_barrier_signal -1
	s_barrier_wait -1
	ds_store_b16 v0, v25
	ds_store_b16 v0, v26 offset:128
	ds_store_b16 v0, v27 offset:256
	;; [unrolled: 1-line block ×7, first 2 shown]
	s_wait_dscnt 0x0
	s_barrier_signal -1
	s_barrier_wait -1
	ds_load_b128 v[25:28], v146
	v_add_nc_u32_e32 v29, s2, v37
	s_delay_alu instid0(VALU_DEP_1)
	v_lshlrev_b32_e32 v30, 1, v29
	s_wait_dscnt 0x0
	buffer_store_b128 v[25:28], v30, s[4:7], null offen
	s_wait_dscnt 0x0
	s_barrier_signal -1
	s_barrier_wait -1
	ds_store_b16 v0, v17
	ds_store_b16 v0, v18 offset:128
	ds_store_b16 v0, v19 offset:256
	;; [unrolled: 1-line block ×7, first 2 shown]
	s_wait_dscnt 0x0
	s_barrier_signal -1
	s_barrier_wait -1
	ds_load_b128 v[17:20], v146
	v_add_nc_u32_e32 v21, 64, v29
	s_delay_alu instid0(VALU_DEP_1)
	v_lshlrev_b32_e32 v22, 1, v21
	s_wait_dscnt 0x0
	s_clause 0x1
	buffer_store_b64 v[17:18], v22, s[4:7], null offen
	buffer_store_b64 v[19:20], v30, s[4:7], null offen offset:136
	s_wait_dscnt 0x0
	s_barrier_signal -1
	s_barrier_wait -1
	ds_store_b16 v0, v9
	ds_store_b16 v0, v10 offset:128
	ds_store_b16 v0, v11 offset:256
	;; [unrolled: 1-line block ×7, first 2 shown]
	s_wait_dscnt 0x0
	s_barrier_signal -1
	s_barrier_wait -1
	ds_load_b128 v[9:12], v146
	v_add_lshl_u32 v13, v21, s2, 1
	s_wait_dscnt 0x0
	buffer_store_b128 v[9:12], v13, s[4:7], null offen
	s_wait_dscnt 0x0
	s_barrier_signal -1
	s_barrier_wait -1
	ds_store_b16 v0, v1
	ds_store_b16 v0, v2 offset:128
	ds_store_b16 v0, v3 offset:256
	;; [unrolled: 1-line block ×7, first 2 shown]
	s_wait_dscnt 0x0
	s_barrier_signal -1
	s_barrier_wait -1
	ds_load_b128 v[0:3], v146
	v_add_lshl_u32 v4, v29, s2, 1
	s_wait_dscnt 0x0
	buffer_store_b128 v[0:3], v4, s[4:7], null offen
                                        ; implicit-def: $vgpr0
	s_and_not1_saveexec_b32 s2, s9
	s_cbranch_execz .LBB3_2
.LBB3_6:
	s_add_nc_u64 s[2:3], s[0:1], 32
	v_and_b32_e32 v1, 0x1fc, v0
	s_load_b32 s14, s[2:3], 0x8
	s_lshl_b32 s15, s8, 8
	s_load_b128 s[8:11], s[0:1], 0x0
	s_load_b32 s2, s[2:3], 0x30
	v_add_nc_u32_e32 v2, 0xffffff00, v1
	v_and_b32_e32 v6, 3, v0
	s_load_b32 s16, s[0:1], 0x60
	v_add_nc_u32_e32 v0, 0xffffff00, v0
	s_mov_b32 s7, 0x31004000
	v_add_nc_u32_e32 v3, s15, v2
	v_lshlrev_b32_e32 v4, 3, v6
	s_load_b32 s0, s[0:1], 0x88
	v_lshrrev_b32_e32 v0, 1, v0
	s_mov_b32 s3, s7
	v_add_nc_u32_e32 v1, s15, v1
	v_lshlrev_b32_e32 v2, 4, v2
	s_delay_alu instid0(VALU_DEP_2)
	v_add_nc_u32_e32 v33, 0xffffff03, v1
	s_wait_kmcnt 0x0
	v_mul_lo_u32 v3, v3, s14
	v_add_nc_u32_e32 v34, 0xffffff02, v1
	s_and_b32 s5, s9, 0xffff
	s_mov_b32 s4, s8
	s_lshl_b32 s6, s2, 1
	s_and_b32 s1, s11, 0xffff
	v_add_nc_u32_e32 v35, 0xffffff01, v1
	v_mad_u32_u24 v36, 0x1010, v6, v2
	v_add_nc_u32_e32 v5, v3, v4
	s_lshl_b32 s2, s0, 1
	s_mov_b32 s0, s10
	s_delay_alu instid0(VALU_DEP_1) | instskip(SKIP_1) | instid1(VALU_DEP_2)
	v_add_nc_u32_e32 v7, s14, v5
	v_lshlrev_b32_e32 v5, 1, v5
	v_add_nc_u32_e32 v8, s14, v7
	buffer_load_b128 v[9:12], v5, s[4:7], null offen
	v_and_b32_e32 v5, 0x7ffffffe, v0
	v_lshlrev_b32_e32 v7, 1, v7
	v_lshlrev_b32_e32 v17, 1, v8
	v_add_lshl_u32 v8, v8, s14, 1
	s_delay_alu instid0(VALU_DEP_4)
	v_lshl_add_u32 v0, s13, 7, v5
	s_clause 0x2
	buffer_load_b128 v[13:16], v7, s[4:7], null offen
	buffer_load_b128 v[17:20], v17, s[4:7], null offen
	;; [unrolled: 1-line block ×3, first 2 shown]
	v_mul_lo_u32 v7, v0, s16
	v_mul_u32_u24_e32 v8, 0x810, v6
	; sched_group_barrier mask(0x00000020) size(4) SyncID(0)
	s_delay_alu instid0(VALU_DEP_2) | instskip(NEXT) | instid1(VALU_DEP_1)
	v_add_nc_u32_e32 v0, v7, v4
	v_lshlrev_b32_e32 v4, 1, v0
	v_add_lshl_u32 v0, v0, s16, 1
	s_clause 0x1
	buffer_load_b128 v[25:28], v4, s[0:3], null offen
	buffer_load_b128 v[29:32], v0, s[0:3], null offen
	v_mul_u32_u24_e32 v4, 0x1010, v6
	v_lshlrev_b32_e32 v0, 4, v6
	s_max_i32 s0, s12, 2
	; sched_group_barrier mask(0x00000020) size(4) SyncID(0)
	; sched_group_barrier mask(0x00000002) size(8) SyncID(0)
	s_delay_alu instid0(SALU_CYCLE_1) | instskip(NEXT) | instid1(VALU_DEP_2)
	s_add_co_i32 s9, s0, -1
	v_add_nc_u32_e32 v1, v2, v4
	v_mul_lo_u32 v4, s14, v33
	v_mul_lo_u32 v33, s14, v34
	;; [unrolled: 1-line block ×3, first 2 shown]
	v_lshl_add_u32 v2, v3, 1, 64
	s_mov_b32 s0, s10
	s_delay_alu instid0(VALU_DEP_4) | instskip(NEXT) | instid1(VALU_DEP_4)
	v_lshl_add_u32 v3, v4, 1, 64
	v_lshl_add_u32 v4, v33, 1, 64
	v_lshlrev_b32_e32 v33, 4, v5
	v_lshl_add_u32 v5, v34, 1, 64
	v_add_nc_u32_e32 v34, s16, v7
	v_lshl_add_u32 v7, v7, 1, 64
	s_delay_alu instid0(VALU_DEP_4) | instskip(SKIP_1) | instid1(VALU_DEP_4)
	v_mad_u32_u24 v35, 0x810, v6, v33
	v_add_nc_u32_e32 v6, v33, v8
	v_lshl_add_u32 v8, v34, 1, 64
	s_wait_loadcnt 0x5
	ds_store_b128 v36, v[9:12]
	s_wait_loadcnt 0x4
	ds_store_b128 v36, v[13:16] offset:16
	s_wait_loadcnt 0x3
	ds_store_b128 v36, v[17:20] offset:32
	;; [unrolled: 2-line block ×5, first 2 shown]
.LBB3_7:                                ; =>This Inner Loop Header: Depth=1
	v_add_nc_u32_e32 v21, v0, v2
	s_wait_dscnt 0x0
	s_barrier_signal -1
	s_barrier_wait -1
	v_add_nc_u32_e32 v2, 64, v2
	buffer_load_b128 v[21:24], v21, s[4:7], null offen
	v_add_nc_u32_e32 v17, v0, v5
	v_add_nc_u32_e32 v5, 64, v5
	s_add_co_i32 s9, s9, -1
	s_wait_alu 0xfffe
	s_cmp_lg_u32 s9, 0
	buffer_load_b128 v[17:20], v17, s[4:7], null offen
	v_add_nc_u32_e32 v13, v0, v4
	buffer_load_b128 v[13:16], v13, s[4:7], null offen
	v_add_nc_u32_e32 v9, v0, v3
	;; [unrolled: 2-line block ×3, first 2 shown]
	v_add_nc_u32_e32 v7, 64, v7
	; sched_group_barrier mask(0x00000020) size(4) SyncID(0)
	buffer_load_b128 v[29:32], v29, s[0:3], null offen
	v_add_nc_u32_e32 v25, v0, v8
	v_add_nc_u32_e32 v8, 64, v8
	buffer_load_b128 v[25:28], v25, s[0:3], null offen
	v_add_nc_u32_e32 v3, 64, v3
	v_add_nc_u32_e32 v4, 64, v4
	; sched_group_barrier mask(0x00000020) size(4) SyncID(0)
	; sched_group_barrier mask(0x00000002) size(8) SyncID(0)
	s_wait_dscnt 0x0
	s_barrier_signal -1
	s_barrier_wait -1
	s_wait_loadcnt 0x5
	ds_store_b128 v1, v[21:24]
	s_wait_loadcnt 0x4
	ds_store_b128 v1, v[17:20] offset:16
	s_wait_loadcnt 0x3
	ds_store_b128 v1, v[13:16] offset:32
	;; [unrolled: 2-line block ×5, first 2 shown]
	s_cbranch_scc1 .LBB3_7
; %bb.8:
	s_wait_dscnt 0x0
	s_barrier_signal -1
	s_barrier_wait -1
	s_wait_dscnt 0x0
	s_barrier_signal -1
	s_barrier_wait -1
	;; [unrolled: 3-line block ×3, first 2 shown]
	s_nop 0
	s_sendmsg sendmsg(MSG_DEALLOC_VGPRS)
	s_endpgm
	.section	.rodata,"a",@progbits
	.p2align	6, 0x0
	.amdhsa_kernel _ZN2ck37kernel_gemm_xdl_waveletmodel_cshuffleINS_53GridwiseGemm_k0mk1_k0nk1_mn_xdl_waveletmodel_cshuffleIDF16_fDF16_DF16_NS_16tensor_operation12element_wise11PassThroughES4_S4_LNS_25InMemoryDataOperationEnumE0ENS_16TensorDescriptorINS_5TupleIJNS_5EmbedINS7_IJiiEEENS7_IJiNS_17integral_constantIiLi1EEEEEELb0EEENS_11PassThroughIiEESF_EEENS7_IJNS_8SequenceIJLi0EEEENSH_IJLi1EEEENSH_IJLi2EEEEEEENS7_IJNSH_IJLi1ELi2EEEENSH_IJLi3EEEENSH_IJLi4EEEEEEENSH_IJLi3ELi4EEEElEESR_SR_Li1ELi256ELi256ELi256ELi128ELi32ELi8ELi8ELi16ELi16ELi8ELi2ENSH_IJLi4ELi64ELi1EEEENSH_IJLi1ELi0ELi2EEEEST_Li2ELi8ELi8ELb0ELi1ESS_ST_ST_Li2ELi8ELi8ELb0ELi1ELi1ELi1ENSH_IJLi1ELi32ELi1ELi8EEEELi4EEEDF16_DF16_S4_S4_S4_NS6_INS7_IJSD_SF_SF_NS_7UnMergeINS7_IJiNSA_IiLi8EEEEEELb0EEESF_EEENS7_IJSI_SJ_SK_SO_SN_EEENS7_IJSM_SN_SO_NSH_IJLi5ELi6EEEENSH_IJLi7EEEEEEENSH_IJLi5ELi7ELi6EEEElEES16_NS6_INS7_IJSD_SF_SF_NSW_INS7_IJiNSA_IiLi256EEEEEELb0EEENSW_INS7_IJiNSA_IiLi128EEEEEELb0EEEEEENS7_IJSI_SJ_SK_SN_SO_EEENS7_IJSM_SN_SO_S12_NSH_IJLi7ELi8EEEEEEENSH_IJLi5ELi6ELi7ELi8EEEElEENS_13TensorAdaptorINS7_IJNSW_ISC_Lb0EEES1K_NS_23Merge_v2_magic_divisionINS7_IJiiSB_SB_EEEEEEEENS7_IJSI_SJ_NSH_IJLi2ELi3ELi4ELi5EEEEEEENS7_IJNSH_IJLi2ELi4EEEENSH_IJLi3ELi5EEEENSH_IJLi6EEEEEEENSH_IJLi0ELi1EEEES1T_EELb1EEEvPKT0_S1Z_PT1_T2_T3_T4_T5_T6_T7_T8_
		.amdhsa_group_segment_fixed_size 24672
		.amdhsa_private_segment_fixed_size 0
		.amdhsa_kernarg_size 276
		.amdhsa_user_sgpr_count 2
		.amdhsa_user_sgpr_dispatch_ptr 0
		.amdhsa_user_sgpr_queue_ptr 0
		.amdhsa_user_sgpr_kernarg_segment_ptr 1
		.amdhsa_user_sgpr_dispatch_id 0
		.amdhsa_user_sgpr_private_segment_size 0
		.amdhsa_wavefront_size32 1
		.amdhsa_uses_dynamic_stack 0
		.amdhsa_enable_private_segment 0
		.amdhsa_system_sgpr_workgroup_id_x 1
		.amdhsa_system_sgpr_workgroup_id_y 0
		.amdhsa_system_sgpr_workgroup_id_z 0
		.amdhsa_system_sgpr_workgroup_info 0
		.amdhsa_system_vgpr_workitem_id 0
		.amdhsa_next_free_vgpr 209
		.amdhsa_next_free_sgpr 17
		.amdhsa_reserve_vcc 0
		.amdhsa_float_round_mode_32 0
		.amdhsa_float_round_mode_16_64 0
		.amdhsa_float_denorm_mode_32 3
		.amdhsa_float_denorm_mode_16_64 3
		.amdhsa_fp16_overflow 0
		.amdhsa_workgroup_processor_mode 1
		.amdhsa_memory_ordered 1
		.amdhsa_forward_progress 1
		.amdhsa_inst_pref_size 41
		.amdhsa_round_robin_scheduling 0
		.amdhsa_exception_fp_ieee_invalid_op 0
		.amdhsa_exception_fp_denorm_src 0
		.amdhsa_exception_fp_ieee_div_zero 0
		.amdhsa_exception_fp_ieee_overflow 0
		.amdhsa_exception_fp_ieee_underflow 0
		.amdhsa_exception_fp_ieee_inexact 0
		.amdhsa_exception_int_div_zero 0
	.end_amdhsa_kernel
	.section	.text._ZN2ck37kernel_gemm_xdl_waveletmodel_cshuffleINS_53GridwiseGemm_k0mk1_k0nk1_mn_xdl_waveletmodel_cshuffleIDF16_fDF16_DF16_NS_16tensor_operation12element_wise11PassThroughES4_S4_LNS_25InMemoryDataOperationEnumE0ENS_16TensorDescriptorINS_5TupleIJNS_5EmbedINS7_IJiiEEENS7_IJiNS_17integral_constantIiLi1EEEEEELb0EEENS_11PassThroughIiEESF_EEENS7_IJNS_8SequenceIJLi0EEEENSH_IJLi1EEEENSH_IJLi2EEEEEEENS7_IJNSH_IJLi1ELi2EEEENSH_IJLi3EEEENSH_IJLi4EEEEEEENSH_IJLi3ELi4EEEElEESR_SR_Li1ELi256ELi256ELi256ELi128ELi32ELi8ELi8ELi16ELi16ELi8ELi2ENSH_IJLi4ELi64ELi1EEEENSH_IJLi1ELi0ELi2EEEEST_Li2ELi8ELi8ELb0ELi1ESS_ST_ST_Li2ELi8ELi8ELb0ELi1ELi1ELi1ENSH_IJLi1ELi32ELi1ELi8EEEELi4EEEDF16_DF16_S4_S4_S4_NS6_INS7_IJSD_SF_SF_NS_7UnMergeINS7_IJiNSA_IiLi8EEEEEELb0EEESF_EEENS7_IJSI_SJ_SK_SO_SN_EEENS7_IJSM_SN_SO_NSH_IJLi5ELi6EEEENSH_IJLi7EEEEEEENSH_IJLi5ELi7ELi6EEEElEES16_NS6_INS7_IJSD_SF_SF_NSW_INS7_IJiNSA_IiLi256EEEEEELb0EEENSW_INS7_IJiNSA_IiLi128EEEEEELb0EEEEEENS7_IJSI_SJ_SK_SN_SO_EEENS7_IJSM_SN_SO_S12_NSH_IJLi7ELi8EEEEEEENSH_IJLi5ELi6ELi7ELi8EEEElEENS_13TensorAdaptorINS7_IJNSW_ISC_Lb0EEES1K_NS_23Merge_v2_magic_divisionINS7_IJiiSB_SB_EEEEEEEENS7_IJSI_SJ_NSH_IJLi2ELi3ELi4ELi5EEEEEEENS7_IJNSH_IJLi2ELi4EEEENSH_IJLi3ELi5EEEENSH_IJLi6EEEEEEENSH_IJLi0ELi1EEEES1T_EELb1EEEvPKT0_S1Z_PT1_T2_T3_T4_T5_T6_T7_T8_,"axG",@progbits,_ZN2ck37kernel_gemm_xdl_waveletmodel_cshuffleINS_53GridwiseGemm_k0mk1_k0nk1_mn_xdl_waveletmodel_cshuffleIDF16_fDF16_DF16_NS_16tensor_operation12element_wise11PassThroughES4_S4_LNS_25InMemoryDataOperationEnumE0ENS_16TensorDescriptorINS_5TupleIJNS_5EmbedINS7_IJiiEEENS7_IJiNS_17integral_constantIiLi1EEEEEELb0EEENS_11PassThroughIiEESF_EEENS7_IJNS_8SequenceIJLi0EEEENSH_IJLi1EEEENSH_IJLi2EEEEEEENS7_IJNSH_IJLi1ELi2EEEENSH_IJLi3EEEENSH_IJLi4EEEEEEENSH_IJLi3ELi4EEEElEESR_SR_Li1ELi256ELi256ELi256ELi128ELi32ELi8ELi8ELi16ELi16ELi8ELi2ENSH_IJLi4ELi64ELi1EEEENSH_IJLi1ELi0ELi2EEEEST_Li2ELi8ELi8ELb0ELi1ESS_ST_ST_Li2ELi8ELi8ELb0ELi1ELi1ELi1ENSH_IJLi1ELi32ELi1ELi8EEEELi4EEEDF16_DF16_S4_S4_S4_NS6_INS7_IJSD_SF_SF_NS_7UnMergeINS7_IJiNSA_IiLi8EEEEEELb0EEESF_EEENS7_IJSI_SJ_SK_SO_SN_EEENS7_IJSM_SN_SO_NSH_IJLi5ELi6EEEENSH_IJLi7EEEEEEENSH_IJLi5ELi7ELi6EEEElEES16_NS6_INS7_IJSD_SF_SF_NSW_INS7_IJiNSA_IiLi256EEEEEELb0EEENSW_INS7_IJiNSA_IiLi128EEEEEELb0EEEEEENS7_IJSI_SJ_SK_SN_SO_EEENS7_IJSM_SN_SO_S12_NSH_IJLi7ELi8EEEEEEENSH_IJLi5ELi6ELi7ELi8EEEElEENS_13TensorAdaptorINS7_IJNSW_ISC_Lb0EEES1K_NS_23Merge_v2_magic_divisionINS7_IJiiSB_SB_EEEEEEEENS7_IJSI_SJ_NSH_IJLi2ELi3ELi4ELi5EEEEEEENS7_IJNSH_IJLi2ELi4EEEENSH_IJLi3ELi5EEEENSH_IJLi6EEEEEEENSH_IJLi0ELi1EEEES1T_EELb1EEEvPKT0_S1Z_PT1_T2_T3_T4_T5_T6_T7_T8_,comdat
.Lfunc_end3:
	.size	_ZN2ck37kernel_gemm_xdl_waveletmodel_cshuffleINS_53GridwiseGemm_k0mk1_k0nk1_mn_xdl_waveletmodel_cshuffleIDF16_fDF16_DF16_NS_16tensor_operation12element_wise11PassThroughES4_S4_LNS_25InMemoryDataOperationEnumE0ENS_16TensorDescriptorINS_5TupleIJNS_5EmbedINS7_IJiiEEENS7_IJiNS_17integral_constantIiLi1EEEEEELb0EEENS_11PassThroughIiEESF_EEENS7_IJNS_8SequenceIJLi0EEEENSH_IJLi1EEEENSH_IJLi2EEEEEEENS7_IJNSH_IJLi1ELi2EEEENSH_IJLi3EEEENSH_IJLi4EEEEEEENSH_IJLi3ELi4EEEElEESR_SR_Li1ELi256ELi256ELi256ELi128ELi32ELi8ELi8ELi16ELi16ELi8ELi2ENSH_IJLi4ELi64ELi1EEEENSH_IJLi1ELi0ELi2EEEEST_Li2ELi8ELi8ELb0ELi1ESS_ST_ST_Li2ELi8ELi8ELb0ELi1ELi1ELi1ENSH_IJLi1ELi32ELi1ELi8EEEELi4EEEDF16_DF16_S4_S4_S4_NS6_INS7_IJSD_SF_SF_NS_7UnMergeINS7_IJiNSA_IiLi8EEEEEELb0EEESF_EEENS7_IJSI_SJ_SK_SO_SN_EEENS7_IJSM_SN_SO_NSH_IJLi5ELi6EEEENSH_IJLi7EEEEEEENSH_IJLi5ELi7ELi6EEEElEES16_NS6_INS7_IJSD_SF_SF_NSW_INS7_IJiNSA_IiLi256EEEEEELb0EEENSW_INS7_IJiNSA_IiLi128EEEEEELb0EEEEEENS7_IJSI_SJ_SK_SN_SO_EEENS7_IJSM_SN_SO_S12_NSH_IJLi7ELi8EEEEEEENSH_IJLi5ELi6ELi7ELi8EEEElEENS_13TensorAdaptorINS7_IJNSW_ISC_Lb0EEES1K_NS_23Merge_v2_magic_divisionINS7_IJiiSB_SB_EEEEEEEENS7_IJSI_SJ_NSH_IJLi2ELi3ELi4ELi5EEEEEEENS7_IJNSH_IJLi2ELi4EEEENSH_IJLi3ELi5EEEENSH_IJLi6EEEEEEENSH_IJLi0ELi1EEEES1T_EELb1EEEvPKT0_S1Z_PT1_T2_T3_T4_T5_T6_T7_T8_, .Lfunc_end3-_ZN2ck37kernel_gemm_xdl_waveletmodel_cshuffleINS_53GridwiseGemm_k0mk1_k0nk1_mn_xdl_waveletmodel_cshuffleIDF16_fDF16_DF16_NS_16tensor_operation12element_wise11PassThroughES4_S4_LNS_25InMemoryDataOperationEnumE0ENS_16TensorDescriptorINS_5TupleIJNS_5EmbedINS7_IJiiEEENS7_IJiNS_17integral_constantIiLi1EEEEEELb0EEENS_11PassThroughIiEESF_EEENS7_IJNS_8SequenceIJLi0EEEENSH_IJLi1EEEENSH_IJLi2EEEEEEENS7_IJNSH_IJLi1ELi2EEEENSH_IJLi3EEEENSH_IJLi4EEEEEEENSH_IJLi3ELi4EEEElEESR_SR_Li1ELi256ELi256ELi256ELi128ELi32ELi8ELi8ELi16ELi16ELi8ELi2ENSH_IJLi4ELi64ELi1EEEENSH_IJLi1ELi0ELi2EEEEST_Li2ELi8ELi8ELb0ELi1ESS_ST_ST_Li2ELi8ELi8ELb0ELi1ELi1ELi1ENSH_IJLi1ELi32ELi1ELi8EEEELi4EEEDF16_DF16_S4_S4_S4_NS6_INS7_IJSD_SF_SF_NS_7UnMergeINS7_IJiNSA_IiLi8EEEEEELb0EEESF_EEENS7_IJSI_SJ_SK_SO_SN_EEENS7_IJSM_SN_SO_NSH_IJLi5ELi6EEEENSH_IJLi7EEEEEEENSH_IJLi5ELi7ELi6EEEElEES16_NS6_INS7_IJSD_SF_SF_NSW_INS7_IJiNSA_IiLi256EEEEEELb0EEENSW_INS7_IJiNSA_IiLi128EEEEEELb0EEEEEENS7_IJSI_SJ_SK_SN_SO_EEENS7_IJSM_SN_SO_S12_NSH_IJLi7ELi8EEEEEEENSH_IJLi5ELi6ELi7ELi8EEEElEENS_13TensorAdaptorINS7_IJNSW_ISC_Lb0EEES1K_NS_23Merge_v2_magic_divisionINS7_IJiiSB_SB_EEEEEEEENS7_IJSI_SJ_NSH_IJLi2ELi3ELi4ELi5EEEEEEENS7_IJNSH_IJLi2ELi4EEEENSH_IJLi3ELi5EEEENSH_IJLi6EEEEEEENSH_IJLi0ELi1EEEES1T_EELb1EEEvPKT0_S1Z_PT1_T2_T3_T4_T5_T6_T7_T8_
                                        ; -- End function
	.set _ZN2ck37kernel_gemm_xdl_waveletmodel_cshuffleINS_53GridwiseGemm_k0mk1_k0nk1_mn_xdl_waveletmodel_cshuffleIDF16_fDF16_DF16_NS_16tensor_operation12element_wise11PassThroughES4_S4_LNS_25InMemoryDataOperationEnumE0ENS_16TensorDescriptorINS_5TupleIJNS_5EmbedINS7_IJiiEEENS7_IJiNS_17integral_constantIiLi1EEEEEELb0EEENS_11PassThroughIiEESF_EEENS7_IJNS_8SequenceIJLi0EEEENSH_IJLi1EEEENSH_IJLi2EEEEEEENS7_IJNSH_IJLi1ELi2EEEENSH_IJLi3EEEENSH_IJLi4EEEEEEENSH_IJLi3ELi4EEEElEESR_SR_Li1ELi256ELi256ELi256ELi128ELi32ELi8ELi8ELi16ELi16ELi8ELi2ENSH_IJLi4ELi64ELi1EEEENSH_IJLi1ELi0ELi2EEEEST_Li2ELi8ELi8ELb0ELi1ESS_ST_ST_Li2ELi8ELi8ELb0ELi1ELi1ELi1ENSH_IJLi1ELi32ELi1ELi8EEEELi4EEEDF16_DF16_S4_S4_S4_NS6_INS7_IJSD_SF_SF_NS_7UnMergeINS7_IJiNSA_IiLi8EEEEEELb0EEESF_EEENS7_IJSI_SJ_SK_SO_SN_EEENS7_IJSM_SN_SO_NSH_IJLi5ELi6EEEENSH_IJLi7EEEEEEENSH_IJLi5ELi7ELi6EEEElEES16_NS6_INS7_IJSD_SF_SF_NSW_INS7_IJiNSA_IiLi256EEEEEELb0EEENSW_INS7_IJiNSA_IiLi128EEEEEELb0EEEEEENS7_IJSI_SJ_SK_SN_SO_EEENS7_IJSM_SN_SO_S12_NSH_IJLi7ELi8EEEEEEENSH_IJLi5ELi6ELi7ELi8EEEElEENS_13TensorAdaptorINS7_IJNSW_ISC_Lb0EEES1K_NS_23Merge_v2_magic_divisionINS7_IJiiSB_SB_EEEEEEEENS7_IJSI_SJ_NSH_IJLi2ELi3ELi4ELi5EEEEEEENS7_IJNSH_IJLi2ELi4EEEENSH_IJLi3ELi5EEEENSH_IJLi6EEEEEEENSH_IJLi0ELi1EEEES1T_EELb1EEEvPKT0_S1Z_PT1_T2_T3_T4_T5_T6_T7_T8_.num_vgpr, 209
	.set _ZN2ck37kernel_gemm_xdl_waveletmodel_cshuffleINS_53GridwiseGemm_k0mk1_k0nk1_mn_xdl_waveletmodel_cshuffleIDF16_fDF16_DF16_NS_16tensor_operation12element_wise11PassThroughES4_S4_LNS_25InMemoryDataOperationEnumE0ENS_16TensorDescriptorINS_5TupleIJNS_5EmbedINS7_IJiiEEENS7_IJiNS_17integral_constantIiLi1EEEEEELb0EEENS_11PassThroughIiEESF_EEENS7_IJNS_8SequenceIJLi0EEEENSH_IJLi1EEEENSH_IJLi2EEEEEEENS7_IJNSH_IJLi1ELi2EEEENSH_IJLi3EEEENSH_IJLi4EEEEEEENSH_IJLi3ELi4EEEElEESR_SR_Li1ELi256ELi256ELi256ELi128ELi32ELi8ELi8ELi16ELi16ELi8ELi2ENSH_IJLi4ELi64ELi1EEEENSH_IJLi1ELi0ELi2EEEEST_Li2ELi8ELi8ELb0ELi1ESS_ST_ST_Li2ELi8ELi8ELb0ELi1ELi1ELi1ENSH_IJLi1ELi32ELi1ELi8EEEELi4EEEDF16_DF16_S4_S4_S4_NS6_INS7_IJSD_SF_SF_NS_7UnMergeINS7_IJiNSA_IiLi8EEEEEELb0EEESF_EEENS7_IJSI_SJ_SK_SO_SN_EEENS7_IJSM_SN_SO_NSH_IJLi5ELi6EEEENSH_IJLi7EEEEEEENSH_IJLi5ELi7ELi6EEEElEES16_NS6_INS7_IJSD_SF_SF_NSW_INS7_IJiNSA_IiLi256EEEEEELb0EEENSW_INS7_IJiNSA_IiLi128EEEEEELb0EEEEEENS7_IJSI_SJ_SK_SN_SO_EEENS7_IJSM_SN_SO_S12_NSH_IJLi7ELi8EEEEEEENSH_IJLi5ELi6ELi7ELi8EEEElEENS_13TensorAdaptorINS7_IJNSW_ISC_Lb0EEES1K_NS_23Merge_v2_magic_divisionINS7_IJiiSB_SB_EEEEEEEENS7_IJSI_SJ_NSH_IJLi2ELi3ELi4ELi5EEEEEEENS7_IJNSH_IJLi2ELi4EEEENSH_IJLi3ELi5EEEENSH_IJLi6EEEEEEENSH_IJLi0ELi1EEEES1T_EELb1EEEvPKT0_S1Z_PT1_T2_T3_T4_T5_T6_T7_T8_.num_agpr, 0
	.set _ZN2ck37kernel_gemm_xdl_waveletmodel_cshuffleINS_53GridwiseGemm_k0mk1_k0nk1_mn_xdl_waveletmodel_cshuffleIDF16_fDF16_DF16_NS_16tensor_operation12element_wise11PassThroughES4_S4_LNS_25InMemoryDataOperationEnumE0ENS_16TensorDescriptorINS_5TupleIJNS_5EmbedINS7_IJiiEEENS7_IJiNS_17integral_constantIiLi1EEEEEELb0EEENS_11PassThroughIiEESF_EEENS7_IJNS_8SequenceIJLi0EEEENSH_IJLi1EEEENSH_IJLi2EEEEEEENS7_IJNSH_IJLi1ELi2EEEENSH_IJLi3EEEENSH_IJLi4EEEEEEENSH_IJLi3ELi4EEEElEESR_SR_Li1ELi256ELi256ELi256ELi128ELi32ELi8ELi8ELi16ELi16ELi8ELi2ENSH_IJLi4ELi64ELi1EEEENSH_IJLi1ELi0ELi2EEEEST_Li2ELi8ELi8ELb0ELi1ESS_ST_ST_Li2ELi8ELi8ELb0ELi1ELi1ELi1ENSH_IJLi1ELi32ELi1ELi8EEEELi4EEEDF16_DF16_S4_S4_S4_NS6_INS7_IJSD_SF_SF_NS_7UnMergeINS7_IJiNSA_IiLi8EEEEEELb0EEESF_EEENS7_IJSI_SJ_SK_SO_SN_EEENS7_IJSM_SN_SO_NSH_IJLi5ELi6EEEENSH_IJLi7EEEEEEENSH_IJLi5ELi7ELi6EEEElEES16_NS6_INS7_IJSD_SF_SF_NSW_INS7_IJiNSA_IiLi256EEEEEELb0EEENSW_INS7_IJiNSA_IiLi128EEEEEELb0EEEEEENS7_IJSI_SJ_SK_SN_SO_EEENS7_IJSM_SN_SO_S12_NSH_IJLi7ELi8EEEEEEENSH_IJLi5ELi6ELi7ELi8EEEElEENS_13TensorAdaptorINS7_IJNSW_ISC_Lb0EEES1K_NS_23Merge_v2_magic_divisionINS7_IJiiSB_SB_EEEEEEEENS7_IJSI_SJ_NSH_IJLi2ELi3ELi4ELi5EEEEEEENS7_IJNSH_IJLi2ELi4EEEENSH_IJLi3ELi5EEEENSH_IJLi6EEEEEEENSH_IJLi0ELi1EEEES1T_EELb1EEEvPKT0_S1Z_PT1_T2_T3_T4_T5_T6_T7_T8_.numbered_sgpr, 17
	.set _ZN2ck37kernel_gemm_xdl_waveletmodel_cshuffleINS_53GridwiseGemm_k0mk1_k0nk1_mn_xdl_waveletmodel_cshuffleIDF16_fDF16_DF16_NS_16tensor_operation12element_wise11PassThroughES4_S4_LNS_25InMemoryDataOperationEnumE0ENS_16TensorDescriptorINS_5TupleIJNS_5EmbedINS7_IJiiEEENS7_IJiNS_17integral_constantIiLi1EEEEEELb0EEENS_11PassThroughIiEESF_EEENS7_IJNS_8SequenceIJLi0EEEENSH_IJLi1EEEENSH_IJLi2EEEEEEENS7_IJNSH_IJLi1ELi2EEEENSH_IJLi3EEEENSH_IJLi4EEEEEEENSH_IJLi3ELi4EEEElEESR_SR_Li1ELi256ELi256ELi256ELi128ELi32ELi8ELi8ELi16ELi16ELi8ELi2ENSH_IJLi4ELi64ELi1EEEENSH_IJLi1ELi0ELi2EEEEST_Li2ELi8ELi8ELb0ELi1ESS_ST_ST_Li2ELi8ELi8ELb0ELi1ELi1ELi1ENSH_IJLi1ELi32ELi1ELi8EEEELi4EEEDF16_DF16_S4_S4_S4_NS6_INS7_IJSD_SF_SF_NS_7UnMergeINS7_IJiNSA_IiLi8EEEEEELb0EEESF_EEENS7_IJSI_SJ_SK_SO_SN_EEENS7_IJSM_SN_SO_NSH_IJLi5ELi6EEEENSH_IJLi7EEEEEEENSH_IJLi5ELi7ELi6EEEElEES16_NS6_INS7_IJSD_SF_SF_NSW_INS7_IJiNSA_IiLi256EEEEEELb0EEENSW_INS7_IJiNSA_IiLi128EEEEEELb0EEEEEENS7_IJSI_SJ_SK_SN_SO_EEENS7_IJSM_SN_SO_S12_NSH_IJLi7ELi8EEEEEEENSH_IJLi5ELi6ELi7ELi8EEEElEENS_13TensorAdaptorINS7_IJNSW_ISC_Lb0EEES1K_NS_23Merge_v2_magic_divisionINS7_IJiiSB_SB_EEEEEEEENS7_IJSI_SJ_NSH_IJLi2ELi3ELi4ELi5EEEEEEENS7_IJNSH_IJLi2ELi4EEEENSH_IJLi3ELi5EEEENSH_IJLi6EEEEEEENSH_IJLi0ELi1EEEES1T_EELb1EEEvPKT0_S1Z_PT1_T2_T3_T4_T5_T6_T7_T8_.num_named_barrier, 0
	.set _ZN2ck37kernel_gemm_xdl_waveletmodel_cshuffleINS_53GridwiseGemm_k0mk1_k0nk1_mn_xdl_waveletmodel_cshuffleIDF16_fDF16_DF16_NS_16tensor_operation12element_wise11PassThroughES4_S4_LNS_25InMemoryDataOperationEnumE0ENS_16TensorDescriptorINS_5TupleIJNS_5EmbedINS7_IJiiEEENS7_IJiNS_17integral_constantIiLi1EEEEEELb0EEENS_11PassThroughIiEESF_EEENS7_IJNS_8SequenceIJLi0EEEENSH_IJLi1EEEENSH_IJLi2EEEEEEENS7_IJNSH_IJLi1ELi2EEEENSH_IJLi3EEEENSH_IJLi4EEEEEEENSH_IJLi3ELi4EEEElEESR_SR_Li1ELi256ELi256ELi256ELi128ELi32ELi8ELi8ELi16ELi16ELi8ELi2ENSH_IJLi4ELi64ELi1EEEENSH_IJLi1ELi0ELi2EEEEST_Li2ELi8ELi8ELb0ELi1ESS_ST_ST_Li2ELi8ELi8ELb0ELi1ELi1ELi1ENSH_IJLi1ELi32ELi1ELi8EEEELi4EEEDF16_DF16_S4_S4_S4_NS6_INS7_IJSD_SF_SF_NS_7UnMergeINS7_IJiNSA_IiLi8EEEEEELb0EEESF_EEENS7_IJSI_SJ_SK_SO_SN_EEENS7_IJSM_SN_SO_NSH_IJLi5ELi6EEEENSH_IJLi7EEEEEEENSH_IJLi5ELi7ELi6EEEElEES16_NS6_INS7_IJSD_SF_SF_NSW_INS7_IJiNSA_IiLi256EEEEEELb0EEENSW_INS7_IJiNSA_IiLi128EEEEEELb0EEEEEENS7_IJSI_SJ_SK_SN_SO_EEENS7_IJSM_SN_SO_S12_NSH_IJLi7ELi8EEEEEEENSH_IJLi5ELi6ELi7ELi8EEEElEENS_13TensorAdaptorINS7_IJNSW_ISC_Lb0EEES1K_NS_23Merge_v2_magic_divisionINS7_IJiiSB_SB_EEEEEEEENS7_IJSI_SJ_NSH_IJLi2ELi3ELi4ELi5EEEEEEENS7_IJNSH_IJLi2ELi4EEEENSH_IJLi3ELi5EEEENSH_IJLi6EEEEEEENSH_IJLi0ELi1EEEES1T_EELb1EEEvPKT0_S1Z_PT1_T2_T3_T4_T5_T6_T7_T8_.private_seg_size, 0
	.set _ZN2ck37kernel_gemm_xdl_waveletmodel_cshuffleINS_53GridwiseGemm_k0mk1_k0nk1_mn_xdl_waveletmodel_cshuffleIDF16_fDF16_DF16_NS_16tensor_operation12element_wise11PassThroughES4_S4_LNS_25InMemoryDataOperationEnumE0ENS_16TensorDescriptorINS_5TupleIJNS_5EmbedINS7_IJiiEEENS7_IJiNS_17integral_constantIiLi1EEEEEELb0EEENS_11PassThroughIiEESF_EEENS7_IJNS_8SequenceIJLi0EEEENSH_IJLi1EEEENSH_IJLi2EEEEEEENS7_IJNSH_IJLi1ELi2EEEENSH_IJLi3EEEENSH_IJLi4EEEEEEENSH_IJLi3ELi4EEEElEESR_SR_Li1ELi256ELi256ELi256ELi128ELi32ELi8ELi8ELi16ELi16ELi8ELi2ENSH_IJLi4ELi64ELi1EEEENSH_IJLi1ELi0ELi2EEEEST_Li2ELi8ELi8ELb0ELi1ESS_ST_ST_Li2ELi8ELi8ELb0ELi1ELi1ELi1ENSH_IJLi1ELi32ELi1ELi8EEEELi4EEEDF16_DF16_S4_S4_S4_NS6_INS7_IJSD_SF_SF_NS_7UnMergeINS7_IJiNSA_IiLi8EEEEEELb0EEESF_EEENS7_IJSI_SJ_SK_SO_SN_EEENS7_IJSM_SN_SO_NSH_IJLi5ELi6EEEENSH_IJLi7EEEEEEENSH_IJLi5ELi7ELi6EEEElEES16_NS6_INS7_IJSD_SF_SF_NSW_INS7_IJiNSA_IiLi256EEEEEELb0EEENSW_INS7_IJiNSA_IiLi128EEEEEELb0EEEEEENS7_IJSI_SJ_SK_SN_SO_EEENS7_IJSM_SN_SO_S12_NSH_IJLi7ELi8EEEEEEENSH_IJLi5ELi6ELi7ELi8EEEElEENS_13TensorAdaptorINS7_IJNSW_ISC_Lb0EEES1K_NS_23Merge_v2_magic_divisionINS7_IJiiSB_SB_EEEEEEEENS7_IJSI_SJ_NSH_IJLi2ELi3ELi4ELi5EEEEEEENS7_IJNSH_IJLi2ELi4EEEENSH_IJLi3ELi5EEEENSH_IJLi6EEEEEEENSH_IJLi0ELi1EEEES1T_EELb1EEEvPKT0_S1Z_PT1_T2_T3_T4_T5_T6_T7_T8_.uses_vcc, 0
	.set _ZN2ck37kernel_gemm_xdl_waveletmodel_cshuffleINS_53GridwiseGemm_k0mk1_k0nk1_mn_xdl_waveletmodel_cshuffleIDF16_fDF16_DF16_NS_16tensor_operation12element_wise11PassThroughES4_S4_LNS_25InMemoryDataOperationEnumE0ENS_16TensorDescriptorINS_5TupleIJNS_5EmbedINS7_IJiiEEENS7_IJiNS_17integral_constantIiLi1EEEEEELb0EEENS_11PassThroughIiEESF_EEENS7_IJNS_8SequenceIJLi0EEEENSH_IJLi1EEEENSH_IJLi2EEEEEEENS7_IJNSH_IJLi1ELi2EEEENSH_IJLi3EEEENSH_IJLi4EEEEEEENSH_IJLi3ELi4EEEElEESR_SR_Li1ELi256ELi256ELi256ELi128ELi32ELi8ELi8ELi16ELi16ELi8ELi2ENSH_IJLi4ELi64ELi1EEEENSH_IJLi1ELi0ELi2EEEEST_Li2ELi8ELi8ELb0ELi1ESS_ST_ST_Li2ELi8ELi8ELb0ELi1ELi1ELi1ENSH_IJLi1ELi32ELi1ELi8EEEELi4EEEDF16_DF16_S4_S4_S4_NS6_INS7_IJSD_SF_SF_NS_7UnMergeINS7_IJiNSA_IiLi8EEEEEELb0EEESF_EEENS7_IJSI_SJ_SK_SO_SN_EEENS7_IJSM_SN_SO_NSH_IJLi5ELi6EEEENSH_IJLi7EEEEEEENSH_IJLi5ELi7ELi6EEEElEES16_NS6_INS7_IJSD_SF_SF_NSW_INS7_IJiNSA_IiLi256EEEEEELb0EEENSW_INS7_IJiNSA_IiLi128EEEEEELb0EEEEEENS7_IJSI_SJ_SK_SN_SO_EEENS7_IJSM_SN_SO_S12_NSH_IJLi7ELi8EEEEEEENSH_IJLi5ELi6ELi7ELi8EEEElEENS_13TensorAdaptorINS7_IJNSW_ISC_Lb0EEES1K_NS_23Merge_v2_magic_divisionINS7_IJiiSB_SB_EEEEEEEENS7_IJSI_SJ_NSH_IJLi2ELi3ELi4ELi5EEEEEEENS7_IJNSH_IJLi2ELi4EEEENSH_IJLi3ELi5EEEENSH_IJLi6EEEEEEENSH_IJLi0ELi1EEEES1T_EELb1EEEvPKT0_S1Z_PT1_T2_T3_T4_T5_T6_T7_T8_.uses_flat_scratch, 0
	.set _ZN2ck37kernel_gemm_xdl_waveletmodel_cshuffleINS_53GridwiseGemm_k0mk1_k0nk1_mn_xdl_waveletmodel_cshuffleIDF16_fDF16_DF16_NS_16tensor_operation12element_wise11PassThroughES4_S4_LNS_25InMemoryDataOperationEnumE0ENS_16TensorDescriptorINS_5TupleIJNS_5EmbedINS7_IJiiEEENS7_IJiNS_17integral_constantIiLi1EEEEEELb0EEENS_11PassThroughIiEESF_EEENS7_IJNS_8SequenceIJLi0EEEENSH_IJLi1EEEENSH_IJLi2EEEEEEENS7_IJNSH_IJLi1ELi2EEEENSH_IJLi3EEEENSH_IJLi4EEEEEEENSH_IJLi3ELi4EEEElEESR_SR_Li1ELi256ELi256ELi256ELi128ELi32ELi8ELi8ELi16ELi16ELi8ELi2ENSH_IJLi4ELi64ELi1EEEENSH_IJLi1ELi0ELi2EEEEST_Li2ELi8ELi8ELb0ELi1ESS_ST_ST_Li2ELi8ELi8ELb0ELi1ELi1ELi1ENSH_IJLi1ELi32ELi1ELi8EEEELi4EEEDF16_DF16_S4_S4_S4_NS6_INS7_IJSD_SF_SF_NS_7UnMergeINS7_IJiNSA_IiLi8EEEEEELb0EEESF_EEENS7_IJSI_SJ_SK_SO_SN_EEENS7_IJSM_SN_SO_NSH_IJLi5ELi6EEEENSH_IJLi7EEEEEEENSH_IJLi5ELi7ELi6EEEElEES16_NS6_INS7_IJSD_SF_SF_NSW_INS7_IJiNSA_IiLi256EEEEEELb0EEENSW_INS7_IJiNSA_IiLi128EEEEEELb0EEEEEENS7_IJSI_SJ_SK_SN_SO_EEENS7_IJSM_SN_SO_S12_NSH_IJLi7ELi8EEEEEEENSH_IJLi5ELi6ELi7ELi8EEEElEENS_13TensorAdaptorINS7_IJNSW_ISC_Lb0EEES1K_NS_23Merge_v2_magic_divisionINS7_IJiiSB_SB_EEEEEEEENS7_IJSI_SJ_NSH_IJLi2ELi3ELi4ELi5EEEEEEENS7_IJNSH_IJLi2ELi4EEEENSH_IJLi3ELi5EEEENSH_IJLi6EEEEEEENSH_IJLi0ELi1EEEES1T_EELb1EEEvPKT0_S1Z_PT1_T2_T3_T4_T5_T6_T7_T8_.has_dyn_sized_stack, 0
	.set _ZN2ck37kernel_gemm_xdl_waveletmodel_cshuffleINS_53GridwiseGemm_k0mk1_k0nk1_mn_xdl_waveletmodel_cshuffleIDF16_fDF16_DF16_NS_16tensor_operation12element_wise11PassThroughES4_S4_LNS_25InMemoryDataOperationEnumE0ENS_16TensorDescriptorINS_5TupleIJNS_5EmbedINS7_IJiiEEENS7_IJiNS_17integral_constantIiLi1EEEEEELb0EEENS_11PassThroughIiEESF_EEENS7_IJNS_8SequenceIJLi0EEEENSH_IJLi1EEEENSH_IJLi2EEEEEEENS7_IJNSH_IJLi1ELi2EEEENSH_IJLi3EEEENSH_IJLi4EEEEEEENSH_IJLi3ELi4EEEElEESR_SR_Li1ELi256ELi256ELi256ELi128ELi32ELi8ELi8ELi16ELi16ELi8ELi2ENSH_IJLi4ELi64ELi1EEEENSH_IJLi1ELi0ELi2EEEEST_Li2ELi8ELi8ELb0ELi1ESS_ST_ST_Li2ELi8ELi8ELb0ELi1ELi1ELi1ENSH_IJLi1ELi32ELi1ELi8EEEELi4EEEDF16_DF16_S4_S4_S4_NS6_INS7_IJSD_SF_SF_NS_7UnMergeINS7_IJiNSA_IiLi8EEEEEELb0EEESF_EEENS7_IJSI_SJ_SK_SO_SN_EEENS7_IJSM_SN_SO_NSH_IJLi5ELi6EEEENSH_IJLi7EEEEEEENSH_IJLi5ELi7ELi6EEEElEES16_NS6_INS7_IJSD_SF_SF_NSW_INS7_IJiNSA_IiLi256EEEEEELb0EEENSW_INS7_IJiNSA_IiLi128EEEEEELb0EEEEEENS7_IJSI_SJ_SK_SN_SO_EEENS7_IJSM_SN_SO_S12_NSH_IJLi7ELi8EEEEEEENSH_IJLi5ELi6ELi7ELi8EEEElEENS_13TensorAdaptorINS7_IJNSW_ISC_Lb0EEES1K_NS_23Merge_v2_magic_divisionINS7_IJiiSB_SB_EEEEEEEENS7_IJSI_SJ_NSH_IJLi2ELi3ELi4ELi5EEEEEEENS7_IJNSH_IJLi2ELi4EEEENSH_IJLi3ELi5EEEENSH_IJLi6EEEEEEENSH_IJLi0ELi1EEEES1T_EELb1EEEvPKT0_S1Z_PT1_T2_T3_T4_T5_T6_T7_T8_.has_recursion, 0
	.set _ZN2ck37kernel_gemm_xdl_waveletmodel_cshuffleINS_53GridwiseGemm_k0mk1_k0nk1_mn_xdl_waveletmodel_cshuffleIDF16_fDF16_DF16_NS_16tensor_operation12element_wise11PassThroughES4_S4_LNS_25InMemoryDataOperationEnumE0ENS_16TensorDescriptorINS_5TupleIJNS_5EmbedINS7_IJiiEEENS7_IJiNS_17integral_constantIiLi1EEEEEELb0EEENS_11PassThroughIiEESF_EEENS7_IJNS_8SequenceIJLi0EEEENSH_IJLi1EEEENSH_IJLi2EEEEEEENS7_IJNSH_IJLi1ELi2EEEENSH_IJLi3EEEENSH_IJLi4EEEEEEENSH_IJLi3ELi4EEEElEESR_SR_Li1ELi256ELi256ELi256ELi128ELi32ELi8ELi8ELi16ELi16ELi8ELi2ENSH_IJLi4ELi64ELi1EEEENSH_IJLi1ELi0ELi2EEEEST_Li2ELi8ELi8ELb0ELi1ESS_ST_ST_Li2ELi8ELi8ELb0ELi1ELi1ELi1ENSH_IJLi1ELi32ELi1ELi8EEEELi4EEEDF16_DF16_S4_S4_S4_NS6_INS7_IJSD_SF_SF_NS_7UnMergeINS7_IJiNSA_IiLi8EEEEEELb0EEESF_EEENS7_IJSI_SJ_SK_SO_SN_EEENS7_IJSM_SN_SO_NSH_IJLi5ELi6EEEENSH_IJLi7EEEEEEENSH_IJLi5ELi7ELi6EEEElEES16_NS6_INS7_IJSD_SF_SF_NSW_INS7_IJiNSA_IiLi256EEEEEELb0EEENSW_INS7_IJiNSA_IiLi128EEEEEELb0EEEEEENS7_IJSI_SJ_SK_SN_SO_EEENS7_IJSM_SN_SO_S12_NSH_IJLi7ELi8EEEEEEENSH_IJLi5ELi6ELi7ELi8EEEElEENS_13TensorAdaptorINS7_IJNSW_ISC_Lb0EEES1K_NS_23Merge_v2_magic_divisionINS7_IJiiSB_SB_EEEEEEEENS7_IJSI_SJ_NSH_IJLi2ELi3ELi4ELi5EEEEEEENS7_IJNSH_IJLi2ELi4EEEENSH_IJLi3ELi5EEEENSH_IJLi6EEEEEEENSH_IJLi0ELi1EEEES1T_EELb1EEEvPKT0_S1Z_PT1_T2_T3_T4_T5_T6_T7_T8_.has_indirect_call, 0
	.section	.AMDGPU.csdata,"",@progbits
; Kernel info:
; codeLenInByte = 5228
; TotalNumSgprs: 17
; NumVgprs: 209
; ScratchSize: 0
; MemoryBound: 0
; FloatMode: 240
; IeeeMode: 1
; LDSByteSize: 24672 bytes/workgroup (compile time only)
; SGPRBlocks: 0
; VGPRBlocks: 26
; NumSGPRsForWavesPerEU: 17
; NumVGPRsForWavesPerEU: 209
; Occupancy: 7
; WaveLimiterHint : 1
; COMPUTE_PGM_RSRC2:SCRATCH_EN: 0
; COMPUTE_PGM_RSRC2:USER_SGPR: 2
; COMPUTE_PGM_RSRC2:TRAP_HANDLER: 0
; COMPUTE_PGM_RSRC2:TGID_X_EN: 1
; COMPUTE_PGM_RSRC2:TGID_Y_EN: 0
; COMPUTE_PGM_RSRC2:TGID_Z_EN: 0
; COMPUTE_PGM_RSRC2:TIDIG_COMP_CNT: 0
	.section	.text._ZN2ck37kernel_gemm_xdl_waveletmodel_cshuffleINS_53GridwiseGemm_k0mk1_k0nk1_mn_xdl_waveletmodel_cshuffleIDF16_fDF16_DF16_NS_16tensor_operation12element_wise11PassThroughES4_S4_LNS_25InMemoryDataOperationEnumE0ENS_16TensorDescriptorINS_5TupleIJNS_5EmbedINS7_IJiiEEENS7_IJiNS_17integral_constantIiLi1EEEEEELb0EEENS_11PassThroughIiEESF_EEENS7_IJNS_8SequenceIJLi0EEEENSH_IJLi1EEEENSH_IJLi2EEEEEEENS7_IJNSH_IJLi1ELi2EEEENSH_IJLi3EEEENSH_IJLi4EEEEEEENSH_IJLi3ELi4EEEElEESR_SR_Li1ELi256ELi256ELi256ELi128ELi32ELi8ELi8ELi16ELi16ELi8ELi2ENSH_IJLi4ELi64ELi1EEEENSH_IJLi1ELi0ELi2EEEEST_Li2ELi8ELi8ELb0ELi1ESS_ST_ST_Li2ELi8ELi8ELb0ELi1ELi1ELi1ENSH_IJLi1ELi32ELi1ELi8EEEELi4EEEDF16_DF16_S4_S4_S4_NS6_INS7_IJSD_SF_SF_NS_7UnMergeINS7_IJiNSA_IiLi8EEEEEELb0EEESF_EEENS7_IJSI_SJ_SK_SO_SN_EEENS7_IJSM_SN_SO_NSH_IJLi5ELi6EEEENSH_IJLi7EEEEEEENSH_IJLi5ELi7ELi6EEEElEES16_NS6_INS7_IJSD_SF_SF_NSW_INS7_IJiNSA_IiLi256EEEEEELb0EEENSW_INS7_IJiNSA_IiLi128EEEEEELb0EEEEEENS7_IJSI_SJ_SK_SN_SO_EEENS7_IJSM_SN_SO_S12_NSH_IJLi7ELi8EEEEEEENSH_IJLi5ELi6ELi7ELi8EEEElEENS_13TensorAdaptorINS7_IJNSW_ISC_Lb0EEES1K_NS_23Merge_v2_magic_divisionINS7_IJiiSB_SB_EEEEEEEENS7_IJSI_SJ_NSH_IJLi2ELi3ELi4ELi5EEEEEEENS7_IJNSH_IJLi2ELi4EEEENSH_IJLi3ELi5EEEENSH_IJLi6EEEEEEENSH_IJLi0ELi1EEEES1T_EELb0EEEvPKT0_S1Z_PT1_T2_T3_T4_T5_T6_T7_T8_,"axG",@progbits,_ZN2ck37kernel_gemm_xdl_waveletmodel_cshuffleINS_53GridwiseGemm_k0mk1_k0nk1_mn_xdl_waveletmodel_cshuffleIDF16_fDF16_DF16_NS_16tensor_operation12element_wise11PassThroughES4_S4_LNS_25InMemoryDataOperationEnumE0ENS_16TensorDescriptorINS_5TupleIJNS_5EmbedINS7_IJiiEEENS7_IJiNS_17integral_constantIiLi1EEEEEELb0EEENS_11PassThroughIiEESF_EEENS7_IJNS_8SequenceIJLi0EEEENSH_IJLi1EEEENSH_IJLi2EEEEEEENS7_IJNSH_IJLi1ELi2EEEENSH_IJLi3EEEENSH_IJLi4EEEEEEENSH_IJLi3ELi4EEEElEESR_SR_Li1ELi256ELi256ELi256ELi128ELi32ELi8ELi8ELi16ELi16ELi8ELi2ENSH_IJLi4ELi64ELi1EEEENSH_IJLi1ELi0ELi2EEEEST_Li2ELi8ELi8ELb0ELi1ESS_ST_ST_Li2ELi8ELi8ELb0ELi1ELi1ELi1ENSH_IJLi1ELi32ELi1ELi8EEEELi4EEEDF16_DF16_S4_S4_S4_NS6_INS7_IJSD_SF_SF_NS_7UnMergeINS7_IJiNSA_IiLi8EEEEEELb0EEESF_EEENS7_IJSI_SJ_SK_SO_SN_EEENS7_IJSM_SN_SO_NSH_IJLi5ELi6EEEENSH_IJLi7EEEEEEENSH_IJLi5ELi7ELi6EEEElEES16_NS6_INS7_IJSD_SF_SF_NSW_INS7_IJiNSA_IiLi256EEEEEELb0EEENSW_INS7_IJiNSA_IiLi128EEEEEELb0EEEEEENS7_IJSI_SJ_SK_SN_SO_EEENS7_IJSM_SN_SO_S12_NSH_IJLi7ELi8EEEEEEENSH_IJLi5ELi6ELi7ELi8EEEElEENS_13TensorAdaptorINS7_IJNSW_ISC_Lb0EEES1K_NS_23Merge_v2_magic_divisionINS7_IJiiSB_SB_EEEEEEEENS7_IJSI_SJ_NSH_IJLi2ELi3ELi4ELi5EEEEEEENS7_IJNSH_IJLi2ELi4EEEENSH_IJLi3ELi5EEEENSH_IJLi6EEEEEEENSH_IJLi0ELi1EEEES1T_EELb0EEEvPKT0_S1Z_PT1_T2_T3_T4_T5_T6_T7_T8_,comdat
	.protected	_ZN2ck37kernel_gemm_xdl_waveletmodel_cshuffleINS_53GridwiseGemm_k0mk1_k0nk1_mn_xdl_waveletmodel_cshuffleIDF16_fDF16_DF16_NS_16tensor_operation12element_wise11PassThroughES4_S4_LNS_25InMemoryDataOperationEnumE0ENS_16TensorDescriptorINS_5TupleIJNS_5EmbedINS7_IJiiEEENS7_IJiNS_17integral_constantIiLi1EEEEEELb0EEENS_11PassThroughIiEESF_EEENS7_IJNS_8SequenceIJLi0EEEENSH_IJLi1EEEENSH_IJLi2EEEEEEENS7_IJNSH_IJLi1ELi2EEEENSH_IJLi3EEEENSH_IJLi4EEEEEEENSH_IJLi3ELi4EEEElEESR_SR_Li1ELi256ELi256ELi256ELi128ELi32ELi8ELi8ELi16ELi16ELi8ELi2ENSH_IJLi4ELi64ELi1EEEENSH_IJLi1ELi0ELi2EEEEST_Li2ELi8ELi8ELb0ELi1ESS_ST_ST_Li2ELi8ELi8ELb0ELi1ELi1ELi1ENSH_IJLi1ELi32ELi1ELi8EEEELi4EEEDF16_DF16_S4_S4_S4_NS6_INS7_IJSD_SF_SF_NS_7UnMergeINS7_IJiNSA_IiLi8EEEEEELb0EEESF_EEENS7_IJSI_SJ_SK_SO_SN_EEENS7_IJSM_SN_SO_NSH_IJLi5ELi6EEEENSH_IJLi7EEEEEEENSH_IJLi5ELi7ELi6EEEElEES16_NS6_INS7_IJSD_SF_SF_NSW_INS7_IJiNSA_IiLi256EEEEEELb0EEENSW_INS7_IJiNSA_IiLi128EEEEEELb0EEEEEENS7_IJSI_SJ_SK_SN_SO_EEENS7_IJSM_SN_SO_S12_NSH_IJLi7ELi8EEEEEEENSH_IJLi5ELi6ELi7ELi8EEEElEENS_13TensorAdaptorINS7_IJNSW_ISC_Lb0EEES1K_NS_23Merge_v2_magic_divisionINS7_IJiiSB_SB_EEEEEEEENS7_IJSI_SJ_NSH_IJLi2ELi3ELi4ELi5EEEEEEENS7_IJNSH_IJLi2ELi4EEEENSH_IJLi3ELi5EEEENSH_IJLi6EEEEEEENSH_IJLi0ELi1EEEES1T_EELb0EEEvPKT0_S1Z_PT1_T2_T3_T4_T5_T6_T7_T8_ ; -- Begin function _ZN2ck37kernel_gemm_xdl_waveletmodel_cshuffleINS_53GridwiseGemm_k0mk1_k0nk1_mn_xdl_waveletmodel_cshuffleIDF16_fDF16_DF16_NS_16tensor_operation12element_wise11PassThroughES4_S4_LNS_25InMemoryDataOperationEnumE0ENS_16TensorDescriptorINS_5TupleIJNS_5EmbedINS7_IJiiEEENS7_IJiNS_17integral_constantIiLi1EEEEEELb0EEENS_11PassThroughIiEESF_EEENS7_IJNS_8SequenceIJLi0EEEENSH_IJLi1EEEENSH_IJLi2EEEEEEENS7_IJNSH_IJLi1ELi2EEEENSH_IJLi3EEEENSH_IJLi4EEEEEEENSH_IJLi3ELi4EEEElEESR_SR_Li1ELi256ELi256ELi256ELi128ELi32ELi8ELi8ELi16ELi16ELi8ELi2ENSH_IJLi4ELi64ELi1EEEENSH_IJLi1ELi0ELi2EEEEST_Li2ELi8ELi8ELb0ELi1ESS_ST_ST_Li2ELi8ELi8ELb0ELi1ELi1ELi1ENSH_IJLi1ELi32ELi1ELi8EEEELi4EEEDF16_DF16_S4_S4_S4_NS6_INS7_IJSD_SF_SF_NS_7UnMergeINS7_IJiNSA_IiLi8EEEEEELb0EEESF_EEENS7_IJSI_SJ_SK_SO_SN_EEENS7_IJSM_SN_SO_NSH_IJLi5ELi6EEEENSH_IJLi7EEEEEEENSH_IJLi5ELi7ELi6EEEElEES16_NS6_INS7_IJSD_SF_SF_NSW_INS7_IJiNSA_IiLi256EEEEEELb0EEENSW_INS7_IJiNSA_IiLi128EEEEEELb0EEEEEENS7_IJSI_SJ_SK_SN_SO_EEENS7_IJSM_SN_SO_S12_NSH_IJLi7ELi8EEEEEEENSH_IJLi5ELi6ELi7ELi8EEEElEENS_13TensorAdaptorINS7_IJNSW_ISC_Lb0EEES1K_NS_23Merge_v2_magic_divisionINS7_IJiiSB_SB_EEEEEEEENS7_IJSI_SJ_NSH_IJLi2ELi3ELi4ELi5EEEEEEENS7_IJNSH_IJLi2ELi4EEEENSH_IJLi3ELi5EEEENSH_IJLi6EEEEEEENSH_IJLi0ELi1EEEES1T_EELb0EEEvPKT0_S1Z_PT1_T2_T3_T4_T5_T6_T7_T8_
	.globl	_ZN2ck37kernel_gemm_xdl_waveletmodel_cshuffleINS_53GridwiseGemm_k0mk1_k0nk1_mn_xdl_waveletmodel_cshuffleIDF16_fDF16_DF16_NS_16tensor_operation12element_wise11PassThroughES4_S4_LNS_25InMemoryDataOperationEnumE0ENS_16TensorDescriptorINS_5TupleIJNS_5EmbedINS7_IJiiEEENS7_IJiNS_17integral_constantIiLi1EEEEEELb0EEENS_11PassThroughIiEESF_EEENS7_IJNS_8SequenceIJLi0EEEENSH_IJLi1EEEENSH_IJLi2EEEEEEENS7_IJNSH_IJLi1ELi2EEEENSH_IJLi3EEEENSH_IJLi4EEEEEEENSH_IJLi3ELi4EEEElEESR_SR_Li1ELi256ELi256ELi256ELi128ELi32ELi8ELi8ELi16ELi16ELi8ELi2ENSH_IJLi4ELi64ELi1EEEENSH_IJLi1ELi0ELi2EEEEST_Li2ELi8ELi8ELb0ELi1ESS_ST_ST_Li2ELi8ELi8ELb0ELi1ELi1ELi1ENSH_IJLi1ELi32ELi1ELi8EEEELi4EEEDF16_DF16_S4_S4_S4_NS6_INS7_IJSD_SF_SF_NS_7UnMergeINS7_IJiNSA_IiLi8EEEEEELb0EEESF_EEENS7_IJSI_SJ_SK_SO_SN_EEENS7_IJSM_SN_SO_NSH_IJLi5ELi6EEEENSH_IJLi7EEEEEEENSH_IJLi5ELi7ELi6EEEElEES16_NS6_INS7_IJSD_SF_SF_NSW_INS7_IJiNSA_IiLi256EEEEEELb0EEENSW_INS7_IJiNSA_IiLi128EEEEEELb0EEEEEENS7_IJSI_SJ_SK_SN_SO_EEENS7_IJSM_SN_SO_S12_NSH_IJLi7ELi8EEEEEEENSH_IJLi5ELi6ELi7ELi8EEEElEENS_13TensorAdaptorINS7_IJNSW_ISC_Lb0EEES1K_NS_23Merge_v2_magic_divisionINS7_IJiiSB_SB_EEEEEEEENS7_IJSI_SJ_NSH_IJLi2ELi3ELi4ELi5EEEEEEENS7_IJNSH_IJLi2ELi4EEEENSH_IJLi3ELi5EEEENSH_IJLi6EEEEEEENSH_IJLi0ELi1EEEES1T_EELb0EEEvPKT0_S1Z_PT1_T2_T3_T4_T5_T6_T7_T8_
	.p2align	8
	.type	_ZN2ck37kernel_gemm_xdl_waveletmodel_cshuffleINS_53GridwiseGemm_k0mk1_k0nk1_mn_xdl_waveletmodel_cshuffleIDF16_fDF16_DF16_NS_16tensor_operation12element_wise11PassThroughES4_S4_LNS_25InMemoryDataOperationEnumE0ENS_16TensorDescriptorINS_5TupleIJNS_5EmbedINS7_IJiiEEENS7_IJiNS_17integral_constantIiLi1EEEEEELb0EEENS_11PassThroughIiEESF_EEENS7_IJNS_8SequenceIJLi0EEEENSH_IJLi1EEEENSH_IJLi2EEEEEEENS7_IJNSH_IJLi1ELi2EEEENSH_IJLi3EEEENSH_IJLi4EEEEEEENSH_IJLi3ELi4EEEElEESR_SR_Li1ELi256ELi256ELi256ELi128ELi32ELi8ELi8ELi16ELi16ELi8ELi2ENSH_IJLi4ELi64ELi1EEEENSH_IJLi1ELi0ELi2EEEEST_Li2ELi8ELi8ELb0ELi1ESS_ST_ST_Li2ELi8ELi8ELb0ELi1ELi1ELi1ENSH_IJLi1ELi32ELi1ELi8EEEELi4EEEDF16_DF16_S4_S4_S4_NS6_INS7_IJSD_SF_SF_NS_7UnMergeINS7_IJiNSA_IiLi8EEEEEELb0EEESF_EEENS7_IJSI_SJ_SK_SO_SN_EEENS7_IJSM_SN_SO_NSH_IJLi5ELi6EEEENSH_IJLi7EEEEEEENSH_IJLi5ELi7ELi6EEEElEES16_NS6_INS7_IJSD_SF_SF_NSW_INS7_IJiNSA_IiLi256EEEEEELb0EEENSW_INS7_IJiNSA_IiLi128EEEEEELb0EEEEEENS7_IJSI_SJ_SK_SN_SO_EEENS7_IJSM_SN_SO_S12_NSH_IJLi7ELi8EEEEEEENSH_IJLi5ELi6ELi7ELi8EEEElEENS_13TensorAdaptorINS7_IJNSW_ISC_Lb0EEES1K_NS_23Merge_v2_magic_divisionINS7_IJiiSB_SB_EEEEEEEENS7_IJSI_SJ_NSH_IJLi2ELi3ELi4ELi5EEEEEEENS7_IJNSH_IJLi2ELi4EEEENSH_IJLi3ELi5EEEENSH_IJLi6EEEEEEENSH_IJLi0ELi1EEEES1T_EELb0EEEvPKT0_S1Z_PT1_T2_T3_T4_T5_T6_T7_T8_,@function
_ZN2ck37kernel_gemm_xdl_waveletmodel_cshuffleINS_53GridwiseGemm_k0mk1_k0nk1_mn_xdl_waveletmodel_cshuffleIDF16_fDF16_DF16_NS_16tensor_operation12element_wise11PassThroughES4_S4_LNS_25InMemoryDataOperationEnumE0ENS_16TensorDescriptorINS_5TupleIJNS_5EmbedINS7_IJiiEEENS7_IJiNS_17integral_constantIiLi1EEEEEELb0EEENS_11PassThroughIiEESF_EEENS7_IJNS_8SequenceIJLi0EEEENSH_IJLi1EEEENSH_IJLi2EEEEEEENS7_IJNSH_IJLi1ELi2EEEENSH_IJLi3EEEENSH_IJLi4EEEEEEENSH_IJLi3ELi4EEEElEESR_SR_Li1ELi256ELi256ELi256ELi128ELi32ELi8ELi8ELi16ELi16ELi8ELi2ENSH_IJLi4ELi64ELi1EEEENSH_IJLi1ELi0ELi2EEEEST_Li2ELi8ELi8ELb0ELi1ESS_ST_ST_Li2ELi8ELi8ELb0ELi1ELi1ELi1ENSH_IJLi1ELi32ELi1ELi8EEEELi4EEEDF16_DF16_S4_S4_S4_NS6_INS7_IJSD_SF_SF_NS_7UnMergeINS7_IJiNSA_IiLi8EEEEEELb0EEESF_EEENS7_IJSI_SJ_SK_SO_SN_EEENS7_IJSM_SN_SO_NSH_IJLi5ELi6EEEENSH_IJLi7EEEEEEENSH_IJLi5ELi7ELi6EEEElEES16_NS6_INS7_IJSD_SF_SF_NSW_INS7_IJiNSA_IiLi256EEEEEELb0EEENSW_INS7_IJiNSA_IiLi128EEEEEELb0EEEEEENS7_IJSI_SJ_SK_SN_SO_EEENS7_IJSM_SN_SO_S12_NSH_IJLi7ELi8EEEEEEENSH_IJLi5ELi6ELi7ELi8EEEElEENS_13TensorAdaptorINS7_IJNSW_ISC_Lb0EEES1K_NS_23Merge_v2_magic_divisionINS7_IJiiSB_SB_EEEEEEEENS7_IJSI_SJ_NSH_IJLi2ELi3ELi4ELi5EEEEEEENS7_IJNSH_IJLi2ELi4EEEENSH_IJLi3ELi5EEEENSH_IJLi6EEEEEEENSH_IJLi0ELi1EEEES1T_EELb0EEEvPKT0_S1Z_PT1_T2_T3_T4_T5_T6_T7_T8_: ; @_ZN2ck37kernel_gemm_xdl_waveletmodel_cshuffleINS_53GridwiseGemm_k0mk1_k0nk1_mn_xdl_waveletmodel_cshuffleIDF16_fDF16_DF16_NS_16tensor_operation12element_wise11PassThroughES4_S4_LNS_25InMemoryDataOperationEnumE0ENS_16TensorDescriptorINS_5TupleIJNS_5EmbedINS7_IJiiEEENS7_IJiNS_17integral_constantIiLi1EEEEEELb0EEENS_11PassThroughIiEESF_EEENS7_IJNS_8SequenceIJLi0EEEENSH_IJLi1EEEENSH_IJLi2EEEEEEENS7_IJNSH_IJLi1ELi2EEEENSH_IJLi3EEEENSH_IJLi4EEEEEEENSH_IJLi3ELi4EEEElEESR_SR_Li1ELi256ELi256ELi256ELi128ELi32ELi8ELi8ELi16ELi16ELi8ELi2ENSH_IJLi4ELi64ELi1EEEENSH_IJLi1ELi0ELi2EEEEST_Li2ELi8ELi8ELb0ELi1ESS_ST_ST_Li2ELi8ELi8ELb0ELi1ELi1ELi1ENSH_IJLi1ELi32ELi1ELi8EEEELi4EEEDF16_DF16_S4_S4_S4_NS6_INS7_IJSD_SF_SF_NS_7UnMergeINS7_IJiNSA_IiLi8EEEEEELb0EEESF_EEENS7_IJSI_SJ_SK_SO_SN_EEENS7_IJSM_SN_SO_NSH_IJLi5ELi6EEEENSH_IJLi7EEEEEEENSH_IJLi5ELi7ELi6EEEElEES16_NS6_INS7_IJSD_SF_SF_NSW_INS7_IJiNSA_IiLi256EEEEEELb0EEENSW_INS7_IJiNSA_IiLi128EEEEEELb0EEEEEENS7_IJSI_SJ_SK_SN_SO_EEENS7_IJSM_SN_SO_S12_NSH_IJLi7ELi8EEEEEEENSH_IJLi5ELi6ELi7ELi8EEEElEENS_13TensorAdaptorINS7_IJNSW_ISC_Lb0EEES1K_NS_23Merge_v2_magic_divisionINS7_IJiiSB_SB_EEEEEEEENS7_IJSI_SJ_NSH_IJLi2ELi3ELi4ELi5EEEEEEENS7_IJNSH_IJLi2ELi4EEEENSH_IJLi3ELi5EEEENSH_IJLi6EEEEEEENSH_IJLi0ELi1EEEES1T_EELb0EEEvPKT0_S1Z_PT1_T2_T3_T4_T5_T6_T7_T8_
; %bb.0:
	s_clause 0x2
	s_load_b32 s2, s[0:1], 0xf8
	s_load_b32 s3, s[0:1], 0x104
	;; [unrolled: 1-line block ×3, first 2 shown]
	s_wait_kmcnt 0x0
	s_mul_hi_u32 s2, s2, ttmp9
	s_delay_alu instid0(SALU_CYCLE_1) | instskip(NEXT) | instid1(SALU_CYCLE_1)
	s_add_co_i32 s2, ttmp9, s2
	s_lshr_b32 s3, s2, s3
	s_delay_alu instid0(SALU_CYCLE_1)
	s_mul_i32 s2, s3, s4
	s_mov_b32 s4, exec_lo
	s_sub_co_i32 s2, ttmp9, s2
	v_cmpx_gt_u32_e32 0x100, v0
	s_xor_b32 s8, exec_lo, s4
	s_cbranch_execnz .LBB4_3
; %bb.1:
	s_and_not1_saveexec_b32 s4, s8
	s_cbranch_execnz .LBB4_4
.LBB4_2:
	s_endpgm
.LBB4_3:
	v_and_b32_e32 v2, 0x80, v0
	v_lshrrev_b32_e32 v1, 1, v0
	v_lshrrev_b32_e32 v41, 3, v0
	v_and_b32_e32 v8, 15, v0
	s_wait_dscnt 0x0
	v_lshlrev_b32_e32 v2, 1, v2
	v_and_b32_e32 v9, 48, v1
	v_and_b32_e32 v3, 2, v41
	s_barrier_signal -1
	s_barrier_wait -1
	v_lshl_or_b32 v2, v8, 4, v2
	v_or_b32_e32 v4, v9, v8
	v_mul_u32_u24_e32 v5, 0x810, v3
	v_and_b32_e32 v1, 8, v1
	v_lshlrev_b32_e32 v11, 3, v0
	v_mad_u32_u24 v12, 0x1010, v3, v2
	v_lshlrev_b32_e32 v14, 1, v8
	v_lshl_add_u32 v10, v4, 4, v5
	v_and_or_b32 v13, v41, 16, v1
	v_and_b32_e32 v94, 56, v11
	ds_load_b128 v[42:45], v12
	ds_load_b128 v[4:7], v10 offset:16432
	ds_load_b128 v[46:49], v12 offset:4112
	;; [unrolled: 1-line block ×3, first 2 shown]
	s_clause 0x2
	s_load_b64 s[4:5], s[0:1], 0x10
	s_load_b32 s9, s[0:1], 0x98
	s_load_b32 s6, s[0:1], 0xc8
	v_lshlrev_b32_e32 v15, 1, v9
	v_lshlrev_b32_e32 v13, 7, v13
	ds_load_b128 v[20:23], v10 offset:17456
	ds_load_b128 v[16:19], v10 offset:19520
	;; [unrolled: 1-line block ×14, first 2 shown]
	s_mov_b32 s7, 0x31004000
	v_or3_b32 v32, v15, v13, v14
	ds_load_b128 v[28:31], v12 offset:7184
	ds_load_b128 v[12:15], v12 offset:7696
	s_wait_dscnt 0x0
	s_barrier_signal -1
	s_barrier_wait -1
	s_wait_kmcnt 0x0
	s_and_b32 s5, s5, 0xffff
	v_wmma_f32_16x16x16_f16 v[33:40], v[42:45], v[4:7], 0
	s_lshl_b32 s6, s6, 1
	s_delay_alu instid0(VALU_DEP_1) | instskip(NEXT) | instid1(VALU_DEP_1)
	v_wmma_f32_16x16x16_f16 v[33:40], v[46:49], v[0:3], v[33:40]
	v_cvt_f16_f32_e32 v90, v33
	v_lshlrev_b32_e32 v33, 1, v94
	s_delay_alu instid0(VALU_DEP_3) | instskip(NEXT) | instid1(VALU_DEP_4)
	v_cvt_f16_f32_e32 v34, v34
	v_cvt_f16_f32_e32 v35, v35
	;; [unrolled: 1-line block ×4, first 2 shown]
	v_lshl_or_b32 v33, v41, 7, v33
	v_cvt_f16_f32_e32 v38, v38
	v_cvt_f16_f32_e32 v39, v39
	;; [unrolled: 1-line block ×3, first 2 shown]
	ds_store_b16 v32, v90
	ds_store_b16 v32, v34 offset:128
	ds_store_b16 v32, v35 offset:256
	ds_store_b16 v32, v36 offset:384
	ds_store_b16 v32, v37 offset:512
	ds_store_b16 v32, v38 offset:640
	ds_store_b16 v32, v39 offset:768
	ds_store_b16 v32, v40 offset:896
	s_wait_dscnt 0x0
	s_barrier_signal -1
	s_barrier_wait -1
	ds_load_b128 v[90:93], v33
	v_lshl_or_b32 v34, s2, 7, v94
	v_lshl_or_b32 v35, s3, 8, v41
	s_delay_alu instid0(VALU_DEP_1) | instskip(SKIP_2) | instid1(VALU_DEP_1)
	v_mad_co_u64_u32 v[94:95], null, v35, s9, v[34:35]
	v_wmma_f32_16x16x16_f16 v[34:41], v[42:45], v[20:23], 0
	s_lshl_b32 s9, s9, 5
	v_wmma_f32_16x16x16_f16 v[34:41], v[46:49], v[16:19], v[34:41]
	s_delay_alu instid0(VALU_DEP_3) | instskip(SKIP_1) | instid1(VALU_DEP_3)
	v_lshlrev_b32_e32 v46, 1, v94
	v_add_nc_u32_e32 v47, 64, v94
	v_cvt_f16_f32_e32 v34, v34
	s_delay_alu instid0(VALU_DEP_4)
	v_cvt_f16_f32_e32 v35, v35
	v_cvt_f16_f32_e32 v36, v36
	;; [unrolled: 1-line block ×4, first 2 shown]
	s_wait_dscnt 0x0
	buffer_store_b128 v[90:93], v46, s[4:7], null offen
	s_wait_dscnt 0x0
	s_barrier_signal -1
	s_barrier_wait -1
	v_cvt_f16_f32_e32 v39, v39
	v_cvt_f16_f32_e32 v40, v40
	;; [unrolled: 1-line block ×3, first 2 shown]
	ds_store_b16 v32, v34
	ds_store_b16 v32, v35 offset:128
	ds_store_b16 v32, v36 offset:256
	ds_store_b16 v32, v37 offset:384
	ds_store_b16 v32, v38 offset:512
	ds_store_b16 v32, v39 offset:640
	ds_store_b16 v32, v40 offset:768
	ds_store_b16 v32, v41 offset:896
	s_wait_dscnt 0x0
	s_barrier_signal -1
	s_barrier_wait -1
	ds_load_b128 v[42:45], v33
	v_wmma_f32_16x16x16_f16 v[34:41], v[50:53], v[20:23], 0
	v_lshlrev_b32_e32 v48, 1, v47
	s_wait_dscnt 0x0
	s_clause 0x1
	buffer_store_b64 v[42:43], v48, s[4:7], null offen
	buffer_store_b64 v[44:45], v46, s[4:7], null offen offset:136
	v_wmma_f32_16x16x16_f16 v[34:41], v[54:57], v[16:19], v[34:41]
	s_wait_dscnt 0x0
	s_barrier_signal -1
	s_barrier_wait -1
	v_add_lshl_u32 v46, v47, s9, 1
	v_cvt_f16_f32_e32 v34, v34
	v_cvt_f16_f32_e32 v35, v35
	;; [unrolled: 1-line block ×8, first 2 shown]
	ds_store_b16 v32, v34
	ds_store_b16 v32, v35 offset:128
	ds_store_b16 v32, v36 offset:256
	ds_store_b16 v32, v37 offset:384
	ds_store_b16 v32, v38 offset:512
	ds_store_b16 v32, v39 offset:640
	ds_store_b16 v32, v40 offset:768
	ds_store_b16 v32, v41 offset:896
	s_wait_dscnt 0x0
	s_barrier_signal -1
	s_barrier_wait -1
	ds_load_b128 v[42:45], v33
	v_wmma_f32_16x16x16_f16 v[34:41], v[50:53], v[4:7], 0
	s_delay_alu instid0(VALU_DEP_1) | instskip(NEXT) | instid1(VALU_DEP_1)
	v_wmma_f32_16x16x16_f16 v[34:41], v[54:57], v[0:3], v[34:41]
	v_cvt_f16_f32_e32 v34, v34
	s_delay_alu instid0(VALU_DEP_2) | instskip(NEXT) | instid1(VALU_DEP_3)
	v_cvt_f16_f32_e32 v35, v35
	v_cvt_f16_f32_e32 v36, v36
	s_delay_alu instid0(VALU_DEP_4)
	v_cvt_f16_f32_e32 v37, v37
	v_cvt_f16_f32_e32 v38, v38
	;; [unrolled: 1-line block ×5, first 2 shown]
	s_wait_dscnt 0x0
	buffer_store_b128 v[42:45], v46, s[4:7], null offen
	s_wait_dscnt 0x0
	s_barrier_signal -1
	s_barrier_wait -1
	ds_store_b16 v32, v34
	ds_store_b16 v32, v35 offset:128
	ds_store_b16 v32, v36 offset:256
	;; [unrolled: 1-line block ×7, first 2 shown]
	s_wait_dscnt 0x0
	s_barrier_signal -1
	s_barrier_wait -1
	ds_load_b128 v[42:45], v33
	v_wmma_f32_16x16x16_f16 v[34:41], v[58:61], v[4:7], 0
	v_add_nc_u32_e32 v46, s9, v94
	s_delay_alu instid0(VALU_DEP_2) | instskip(NEXT) | instid1(VALU_DEP_2)
	v_wmma_f32_16x16x16_f16 v[34:41], v[66:69], v[0:3], v[34:41]
	v_lshlrev_b32_e32 v47, 1, v46
	v_add_nc_u32_e32 v46, s9, v46
	s_delay_alu instid0(VALU_DEP_3) | instskip(NEXT) | instid1(VALU_DEP_4)
	v_cvt_f16_f32_e32 v34, v34
	v_cvt_f16_f32_e32 v35, v35
	;; [unrolled: 1-line block ×8, first 2 shown]
	v_add_nc_u32_e32 v48, 64, v46
	s_wait_dscnt 0x0
	buffer_store_b128 v[42:45], v47, s[4:7], null offen
	s_wait_dscnt 0x0
	s_barrier_signal -1
	s_barrier_wait -1
	ds_store_b16 v32, v34
	ds_store_b16 v32, v35 offset:128
	ds_store_b16 v32, v36 offset:256
	;; [unrolled: 1-line block ×7, first 2 shown]
	s_wait_dscnt 0x0
	s_barrier_signal -1
	s_barrier_wait -1
	ds_load_b128 v[42:45], v33
	v_wmma_f32_16x16x16_f16 v[34:41], v[58:61], v[20:23], 0
	v_lshlrev_b32_e32 v47, 1, v46
	v_lshlrev_b32_e32 v49, 1, v48
	v_add_nc_u32_e32 v46, s9, v46
	s_delay_alu instid0(VALU_DEP_4) | instskip(NEXT) | instid1(VALU_DEP_1)
	v_wmma_f32_16x16x16_f16 v[34:41], v[66:69], v[16:19], v[34:41]
	v_cvt_f16_f32_e32 v34, v34
	s_delay_alu instid0(VALU_DEP_2) | instskip(NEXT) | instid1(VALU_DEP_3)
	v_cvt_f16_f32_e32 v35, v35
	v_cvt_f16_f32_e32 v36, v36
	s_delay_alu instid0(VALU_DEP_4)
	v_cvt_f16_f32_e32 v37, v37
	v_cvt_f16_f32_e32 v38, v38
	;; [unrolled: 1-line block ×5, first 2 shown]
	s_wait_dscnt 0x0
	buffer_store_b128 v[42:45], v47, s[4:7], null offen
	s_wait_dscnt 0x0
	s_barrier_signal -1
	s_barrier_wait -1
	ds_store_b16 v32, v34
	ds_store_b16 v32, v35 offset:128
	ds_store_b16 v32, v36 offset:256
	ds_store_b16 v32, v37 offset:384
	ds_store_b16 v32, v38 offset:512
	ds_store_b16 v32, v39 offset:640
	ds_store_b16 v32, v40 offset:768
	ds_store_b16 v32, v41 offset:896
	s_wait_dscnt 0x0
	s_barrier_signal -1
	s_barrier_wait -1
	ds_load_b128 v[42:45], v33
	v_wmma_f32_16x16x16_f16 v[34:41], v[62:65], v[20:23], 0
	s_wait_dscnt 0x0
	s_clause 0x1
	buffer_store_b64 v[42:43], v49, s[4:7], null offen
	buffer_store_b64 v[44:45], v47, s[4:7], null offen offset:136
	v_wmma_f32_16x16x16_f16 v[34:41], v[70:73], v[16:19], v[34:41]
	s_wait_dscnt 0x0
	s_barrier_signal -1
	s_barrier_wait -1
	v_add_lshl_u32 v47, v48, s9, 1
	v_cvt_f16_f32_e32 v34, v34
	v_cvt_f16_f32_e32 v35, v35
	;; [unrolled: 1-line block ×8, first 2 shown]
	ds_store_b16 v32, v34
	ds_store_b16 v32, v35 offset:128
	ds_store_b16 v32, v36 offset:256
	;; [unrolled: 1-line block ×7, first 2 shown]
	s_wait_dscnt 0x0
	s_barrier_signal -1
	s_barrier_wait -1
	ds_load_b128 v[42:45], v33
	v_wmma_f32_16x16x16_f16 v[34:41], v[62:65], v[4:7], 0
	s_delay_alu instid0(VALU_DEP_1) | instskip(NEXT) | instid1(VALU_DEP_1)
	v_wmma_f32_16x16x16_f16 v[34:41], v[70:73], v[0:3], v[34:41]
	v_cvt_f16_f32_e32 v34, v34
	s_delay_alu instid0(VALU_DEP_2) | instskip(NEXT) | instid1(VALU_DEP_3)
	v_cvt_f16_f32_e32 v35, v35
	v_cvt_f16_f32_e32 v36, v36
	s_delay_alu instid0(VALU_DEP_4)
	v_cvt_f16_f32_e32 v37, v37
	v_cvt_f16_f32_e32 v38, v38
	;; [unrolled: 1-line block ×5, first 2 shown]
	s_wait_dscnt 0x0
	buffer_store_b128 v[42:45], v47, s[4:7], null offen
	s_wait_dscnt 0x0
	s_barrier_signal -1
	s_barrier_wait -1
	ds_store_b16 v32, v34
	ds_store_b16 v32, v35 offset:128
	ds_store_b16 v32, v36 offset:256
	;; [unrolled: 1-line block ×7, first 2 shown]
	s_wait_dscnt 0x0
	s_barrier_signal -1
	s_barrier_wait -1
	ds_load_b128 v[42:45], v33
	v_wmma_f32_16x16x16_f16 v[34:41], v[74:77], v[4:7], 0
	v_lshlrev_b32_e32 v47, 1, v46
	v_add_nc_u32_e32 v46, s9, v46
	s_delay_alu instid0(VALU_DEP_3) | instskip(NEXT) | instid1(VALU_DEP_2)
	v_wmma_f32_16x16x16_f16 v[34:41], v[82:85], v[0:3], v[34:41]
	v_add_nc_u32_e32 v48, 64, v46
	s_delay_alu instid0(VALU_DEP_2) | instskip(NEXT) | instid1(VALU_DEP_3)
	v_cvt_f16_f32_e32 v34, v34
	v_cvt_f16_f32_e32 v35, v35
	s_delay_alu instid0(VALU_DEP_4)
	v_cvt_f16_f32_e32 v36, v36
	v_cvt_f16_f32_e32 v37, v37
	;; [unrolled: 1-line block ×6, first 2 shown]
	v_lshlrev_b32_e32 v49, 1, v48
	s_wait_dscnt 0x0
	buffer_store_b128 v[42:45], v47, s[4:7], null offen
	s_wait_dscnt 0x0
	s_barrier_signal -1
	s_barrier_wait -1
	ds_store_b16 v32, v34
	ds_store_b16 v32, v35 offset:128
	ds_store_b16 v32, v36 offset:256
	;; [unrolled: 1-line block ×7, first 2 shown]
	s_wait_dscnt 0x0
	s_barrier_signal -1
	s_barrier_wait -1
	ds_load_b128 v[42:45], v33
	v_wmma_f32_16x16x16_f16 v[34:41], v[74:77], v[20:23], 0
	v_lshlrev_b32_e32 v47, 1, v46
	v_add_nc_u32_e32 v46, s9, v46
	s_delay_alu instid0(VALU_DEP_3) | instskip(NEXT) | instid1(VALU_DEP_1)
	v_wmma_f32_16x16x16_f16 v[34:41], v[82:85], v[16:19], v[34:41]
	v_cvt_f16_f32_e32 v34, v34
	s_delay_alu instid0(VALU_DEP_2) | instskip(NEXT) | instid1(VALU_DEP_3)
	v_cvt_f16_f32_e32 v35, v35
	v_cvt_f16_f32_e32 v36, v36
	s_delay_alu instid0(VALU_DEP_4)
	v_cvt_f16_f32_e32 v37, v37
	v_cvt_f16_f32_e32 v38, v38
	;; [unrolled: 1-line block ×5, first 2 shown]
	s_wait_dscnt 0x0
	buffer_store_b128 v[42:45], v47, s[4:7], null offen
	s_wait_dscnt 0x0
	s_barrier_signal -1
	s_barrier_wait -1
	ds_store_b16 v32, v34
	ds_store_b16 v32, v35 offset:128
	ds_store_b16 v32, v36 offset:256
	ds_store_b16 v32, v37 offset:384
	ds_store_b16 v32, v38 offset:512
	ds_store_b16 v32, v39 offset:640
	ds_store_b16 v32, v40 offset:768
	ds_store_b16 v32, v41 offset:896
	s_wait_dscnt 0x0
	s_barrier_signal -1
	s_barrier_wait -1
	ds_load_b128 v[42:45], v33
	v_wmma_f32_16x16x16_f16 v[34:41], v[78:81], v[20:23], 0
	s_wait_dscnt 0x0
	s_clause 0x1
	buffer_store_b64 v[42:43], v49, s[4:7], null offen
	buffer_store_b64 v[44:45], v47, s[4:7], null offen offset:136
	v_wmma_f32_16x16x16_f16 v[34:41], v[86:89], v[16:19], v[34:41]
	s_wait_dscnt 0x0
	s_barrier_signal -1
	s_barrier_wait -1
	v_add_lshl_u32 v47, v48, s9, 1
	v_cvt_f16_f32_e32 v34, v34
	v_cvt_f16_f32_e32 v35, v35
	;; [unrolled: 1-line block ×8, first 2 shown]
	ds_store_b16 v32, v34
	ds_store_b16 v32, v35 offset:128
	ds_store_b16 v32, v36 offset:256
	;; [unrolled: 1-line block ×7, first 2 shown]
	s_wait_dscnt 0x0
	s_barrier_signal -1
	s_barrier_wait -1
	ds_load_b128 v[42:45], v33
	v_wmma_f32_16x16x16_f16 v[34:41], v[78:81], v[4:7], 0
	s_delay_alu instid0(VALU_DEP_1) | instskip(NEXT) | instid1(VALU_DEP_1)
	v_wmma_f32_16x16x16_f16 v[34:41], v[86:89], v[0:3], v[34:41]
	v_cvt_f16_f32_e32 v34, v34
	s_delay_alu instid0(VALU_DEP_2) | instskip(NEXT) | instid1(VALU_DEP_3)
	v_cvt_f16_f32_e32 v35, v35
	v_cvt_f16_f32_e32 v36, v36
	s_delay_alu instid0(VALU_DEP_4)
	v_cvt_f16_f32_e32 v37, v37
	v_cvt_f16_f32_e32 v38, v38
	;; [unrolled: 1-line block ×5, first 2 shown]
	s_wait_dscnt 0x0
	buffer_store_b128 v[42:45], v47, s[4:7], null offen
	s_wait_dscnt 0x0
	s_barrier_signal -1
	s_barrier_wait -1
	ds_store_b16 v32, v34
	ds_store_b16 v32, v35 offset:128
	ds_store_b16 v32, v36 offset:256
	;; [unrolled: 1-line block ×7, first 2 shown]
	s_wait_dscnt 0x0
	s_barrier_signal -1
	s_barrier_wait -1
	ds_load_b128 v[42:45], v33
	v_wmma_f32_16x16x16_f16 v[34:41], v[24:27], v[4:7], 0
	v_lshlrev_b32_e32 v47, 1, v46
	v_add_nc_u32_e32 v46, s9, v46
	s_delay_alu instid0(VALU_DEP_3) | instskip(NEXT) | instid1(VALU_DEP_1)
	v_wmma_f32_16x16x16_f16 v[34:41], v[28:31], v[0:3], v[34:41]
	v_cvt_f16_f32_e32 v34, v34
	s_delay_alu instid0(VALU_DEP_2) | instskip(NEXT) | instid1(VALU_DEP_3)
	v_cvt_f16_f32_e32 v35, v35
	v_cvt_f16_f32_e32 v36, v36
	s_delay_alu instid0(VALU_DEP_4)
	v_cvt_f16_f32_e32 v37, v37
	v_cvt_f16_f32_e32 v38, v38
	;; [unrolled: 1-line block ×5, first 2 shown]
	s_wait_dscnt 0x0
	buffer_store_b128 v[42:45], v47, s[4:7], null offen
	s_wait_dscnt 0x0
	s_barrier_signal -1
	s_barrier_wait -1
	ds_store_b16 v32, v34
	ds_store_b16 v32, v35 offset:128
	ds_store_b16 v32, v36 offset:256
	;; [unrolled: 1-line block ×7, first 2 shown]
	s_wait_dscnt 0x0
	s_barrier_signal -1
	s_barrier_wait -1
	ds_load_b128 v[42:45], v33
	v_wmma_f32_16x16x16_f16 v[34:41], v[24:27], v[20:23], 0
	v_lshlrev_b32_e32 v47, 1, v46
	s_delay_alu instid0(VALU_DEP_2) | instskip(NEXT) | instid1(VALU_DEP_1)
	v_wmma_f32_16x16x16_f16 v[34:41], v[28:31], v[16:19], v[34:41]
	v_cvt_f16_f32_e32 v24, v34
	s_delay_alu instid0(VALU_DEP_2) | instskip(NEXT) | instid1(VALU_DEP_3)
	v_cvt_f16_f32_e32 v25, v35
	v_cvt_f16_f32_e32 v26, v36
	s_delay_alu instid0(VALU_DEP_4)
	v_cvt_f16_f32_e32 v27, v37
	v_cvt_f16_f32_e32 v28, v38
	;; [unrolled: 1-line block ×5, first 2 shown]
	v_add_nc_u32_e32 v38, 64, v46
	s_wait_dscnt 0x0
	buffer_store_b128 v[42:45], v47, s[4:7], null offen
	s_wait_dscnt 0x0
	s_barrier_signal -1
	s_barrier_wait -1
	ds_store_b16 v32, v24
	ds_store_b16 v32, v25 offset:128
	ds_store_b16 v32, v26 offset:256
	;; [unrolled: 1-line block ×7, first 2 shown]
	s_wait_dscnt 0x0
	s_barrier_signal -1
	s_barrier_wait -1
	ds_load_b128 v[34:37], v33
	v_wmma_f32_16x16x16_f16 v[24:31], v[8:11], v[20:23], 0
	v_lshlrev_b32_e32 v20, 1, v38
	s_wait_dscnt 0x0
	s_clause 0x1
	buffer_store_b64 v[34:35], v20, s[4:7], null offen
	buffer_store_b64 v[36:37], v47, s[4:7], null offen offset:136
	v_wmma_f32_16x16x16_f16 v[24:31], v[12:15], v[16:19], v[24:31]
	s_wait_dscnt 0x0
	s_barrier_signal -1
	s_barrier_wait -1
	s_delay_alu instid0(VALU_DEP_1)
	v_cvt_f16_f32_e32 v16, v24
	v_cvt_f16_f32_e32 v17, v25
	;; [unrolled: 1-line block ×8, first 2 shown]
	ds_store_b16 v32, v16
	ds_store_b16 v32, v17 offset:128
	ds_store_b16 v32, v18 offset:256
	ds_store_b16 v32, v19 offset:384
	ds_store_b16 v32, v20 offset:512
	ds_store_b16 v32, v21 offset:640
	ds_store_b16 v32, v22 offset:768
	ds_store_b16 v32, v23 offset:896
	s_wait_dscnt 0x0
	s_barrier_signal -1
	s_barrier_wait -1
	ds_load_b128 v[24:27], v33
	v_wmma_f32_16x16x16_f16 v[16:23], v[8:11], v[4:7], 0
	v_add_lshl_u32 v4, v38, s9, 1
	s_delay_alu instid0(VALU_DEP_2) | instskip(NEXT) | instid1(VALU_DEP_1)
	v_wmma_f32_16x16x16_f16 v[16:23], v[12:15], v[0:3], v[16:23]
	v_cvt_f16_f32_e32 v0, v16
	s_delay_alu instid0(VALU_DEP_2) | instskip(NEXT) | instid1(VALU_DEP_3)
	v_cvt_f16_f32_e32 v1, v17
	v_cvt_f16_f32_e32 v2, v18
	s_delay_alu instid0(VALU_DEP_4)
	v_cvt_f16_f32_e32 v3, v19
	v_cvt_f16_f32_e32 v5, v21
	;; [unrolled: 1-line block ×4, first 2 shown]
	s_wait_dscnt 0x0
	buffer_store_b128 v[24:27], v4, s[4:7], null offen
	v_cvt_f16_f32_e32 v4, v20
	s_wait_dscnt 0x0
	s_barrier_signal -1
	s_barrier_wait -1
	ds_store_b16 v32, v0
	ds_store_b16 v32, v1 offset:128
	ds_store_b16 v32, v2 offset:256
	;; [unrolled: 1-line block ×7, first 2 shown]
	s_wait_dscnt 0x0
	s_barrier_signal -1
	s_barrier_wait -1
	ds_load_b128 v[0:3], v33
	v_add_lshl_u32 v4, v46, s9, 1
	s_wait_dscnt 0x0
	buffer_store_b128 v[0:3], v4, s[4:7], null offen
                                        ; implicit-def: $vgpr0
	s_and_not1_saveexec_b32 s4, s8
	s_cbranch_execz .LBB4_2
.LBB4_4:
	s_load_b32 s12, s[0:1], 0x28
	v_and_b32_e32 v1, 0x1fc, v0
	v_and_b32_e32 v25, 3, v0
	s_clause 0x1
	s_load_b32 s8, s[0:1], 0x50
	s_load_b128 s[4:7], s[0:1], 0x0
	v_add_nc_u32_e32 v0, 0xffffff00, v0
	v_add_nc_u32_e32 v26, 0xffffff00, v1
	v_lshlrev_b32_e32 v17, 3, v25
	s_mov_b32 s11, 0x31004000
	v_mul_u32_u24_e32 v27, 0x1010, v25
	v_lshrrev_b32_e32 v0, 1, v0
	v_lshl_add_u32 v1, s3, 8, v26
	s_clause 0x1
	s_load_b32 s3, s[0:1], 0x60
	s_load_b32 s0, s[0:1], 0x88
	v_mul_u32_u24_e32 v25, 0x810, v25
	v_and_b32_e32 v0, 0x7ffffffe, v0
	v_lshl_add_u32 v26, v26, 4, v27
	s_wait_kmcnt 0x0
	v_mad_co_u64_u32 v[1:2], null, v1, s12, v[17:18]
	s_delay_alu instid0(VALU_DEP_3) | instskip(SKIP_4) | instid1(VALU_DEP_3)
	v_lshl_add_u32 v18, s2, 7, v0
	s_lshl_b32 s10, s8, 1
	s_and_b32 s9, s5, 0xffff
	s_mov_b32 s8, s4
	v_lshl_add_u32 v0, v0, 4, v25
	v_add_nc_u32_e32 v2, s12, v1
	v_lshlrev_b32_e32 v1, 1, v1
	v_mad_co_u64_u32 v[17:18], null, v18, s3, v[17:18]
	s_delay_alu instid0(VALU_DEP_3) | instskip(SKIP_4) | instid1(VALU_DEP_3)
	v_lshlrev_b32_e32 v5, 1, v2
	buffer_load_b128 v[5:8], v5, s[8:11], null offen
	v_add_nc_u32_e32 v3, s12, v2
	v_lshlrev_b32_e32 v18, 1, v17
	v_add_lshl_u32 v21, v17, s3, 1
	v_lshlrev_b32_e32 v9, 1, v3
	v_add_lshl_u32 v13, v3, s12, 1
	s_clause 0x2
	buffer_load_b128 v[1:4], v1, s[8:11], null offen
	buffer_load_b128 v[9:12], v9, s[8:11], null offen
	;; [unrolled: 1-line block ×3, first 2 shown]
	s_lshl_b32 s10, s0, 1
	s_and_b32 s9, s7, 0xffff
	s_mov_b32 s8, s6
	; sched_group_barrier mask(0x00000020) size(4) SyncID(0)
	s_clause 0x1
	buffer_load_b128 v[17:20], v18, s[8:11], null offen
	buffer_load_b128 v[21:24], v21, s[8:11], null offen
	; sched_group_barrier mask(0x00000020) size(4) SyncID(0)
	; sched_group_barrier mask(0x00000002) size(8) SyncID(0)
	s_wait_loadcnt 0x5
	ds_store_b128 v26, v[5:8] offset:16
	s_wait_loadcnt 0x4
	ds_store_b128 v26, v[1:4]
	s_wait_loadcnt 0x3
	ds_store_b128 v26, v[9:12] offset:32
	s_wait_loadcnt 0x2
	ds_store_b128 v26, v[13:16] offset:48
	s_wait_loadcnt 0x1
	ds_store_b128 v0, v[17:20] offset:16432
	s_wait_loadcnt 0x0
	ds_store_b128 v0, v[21:24] offset:16448
	s_wait_dscnt 0x0
	s_barrier_signal -1
	s_barrier_wait -1
	s_wait_dscnt 0x0
	s_barrier_signal -1
	s_barrier_wait -1
	;; [unrolled: 3-line block ×3, first 2 shown]
	s_endpgm
	.section	.rodata,"a",@progbits
	.p2align	6, 0x0
	.amdhsa_kernel _ZN2ck37kernel_gemm_xdl_waveletmodel_cshuffleINS_53GridwiseGemm_k0mk1_k0nk1_mn_xdl_waveletmodel_cshuffleIDF16_fDF16_DF16_NS_16tensor_operation12element_wise11PassThroughES4_S4_LNS_25InMemoryDataOperationEnumE0ENS_16TensorDescriptorINS_5TupleIJNS_5EmbedINS7_IJiiEEENS7_IJiNS_17integral_constantIiLi1EEEEEELb0EEENS_11PassThroughIiEESF_EEENS7_IJNS_8SequenceIJLi0EEEENSH_IJLi1EEEENSH_IJLi2EEEEEEENS7_IJNSH_IJLi1ELi2EEEENSH_IJLi3EEEENSH_IJLi4EEEEEEENSH_IJLi3ELi4EEEElEESR_SR_Li1ELi256ELi256ELi256ELi128ELi32ELi8ELi8ELi16ELi16ELi8ELi2ENSH_IJLi4ELi64ELi1EEEENSH_IJLi1ELi0ELi2EEEEST_Li2ELi8ELi8ELb0ELi1ESS_ST_ST_Li2ELi8ELi8ELb0ELi1ELi1ELi1ENSH_IJLi1ELi32ELi1ELi8EEEELi4EEEDF16_DF16_S4_S4_S4_NS6_INS7_IJSD_SF_SF_NS_7UnMergeINS7_IJiNSA_IiLi8EEEEEELb0EEESF_EEENS7_IJSI_SJ_SK_SO_SN_EEENS7_IJSM_SN_SO_NSH_IJLi5ELi6EEEENSH_IJLi7EEEEEEENSH_IJLi5ELi7ELi6EEEElEES16_NS6_INS7_IJSD_SF_SF_NSW_INS7_IJiNSA_IiLi256EEEEEELb0EEENSW_INS7_IJiNSA_IiLi128EEEEEELb0EEEEEENS7_IJSI_SJ_SK_SN_SO_EEENS7_IJSM_SN_SO_S12_NSH_IJLi7ELi8EEEEEEENSH_IJLi5ELi6ELi7ELi8EEEElEENS_13TensorAdaptorINS7_IJNSW_ISC_Lb0EEES1K_NS_23Merge_v2_magic_divisionINS7_IJiiSB_SB_EEEEEEEENS7_IJSI_SJ_NSH_IJLi2ELi3ELi4ELi5EEEEEEENS7_IJNSH_IJLi2ELi4EEEENSH_IJLi3ELi5EEEENSH_IJLi6EEEEEEENSH_IJLi0ELi1EEEES1T_EELb0EEEvPKT0_S1Z_PT1_T2_T3_T4_T5_T6_T7_T8_
		.amdhsa_group_segment_fixed_size 24672
		.amdhsa_private_segment_fixed_size 0
		.amdhsa_kernarg_size 276
		.amdhsa_user_sgpr_count 2
		.amdhsa_user_sgpr_dispatch_ptr 0
		.amdhsa_user_sgpr_queue_ptr 0
		.amdhsa_user_sgpr_kernarg_segment_ptr 1
		.amdhsa_user_sgpr_dispatch_id 0
		.amdhsa_user_sgpr_private_segment_size 0
		.amdhsa_wavefront_size32 1
		.amdhsa_uses_dynamic_stack 0
		.amdhsa_enable_private_segment 0
		.amdhsa_system_sgpr_workgroup_id_x 1
		.amdhsa_system_sgpr_workgroup_id_y 0
		.amdhsa_system_sgpr_workgroup_id_z 0
		.amdhsa_system_sgpr_workgroup_info 0
		.amdhsa_system_vgpr_workitem_id 0
		.amdhsa_next_free_vgpr 96
		.amdhsa_next_free_sgpr 13
		.amdhsa_reserve_vcc 0
		.amdhsa_float_round_mode_32 0
		.amdhsa_float_round_mode_16_64 0
		.amdhsa_float_denorm_mode_32 3
		.amdhsa_float_denorm_mode_16_64 3
		.amdhsa_fp16_overflow 0
		.amdhsa_workgroup_processor_mode 1
		.amdhsa_memory_ordered 1
		.amdhsa_forward_progress 1
		.amdhsa_inst_pref_size 30
		.amdhsa_round_robin_scheduling 0
		.amdhsa_exception_fp_ieee_invalid_op 0
		.amdhsa_exception_fp_denorm_src 0
		.amdhsa_exception_fp_ieee_div_zero 0
		.amdhsa_exception_fp_ieee_overflow 0
		.amdhsa_exception_fp_ieee_underflow 0
		.amdhsa_exception_fp_ieee_inexact 0
		.amdhsa_exception_int_div_zero 0
	.end_amdhsa_kernel
	.section	.text._ZN2ck37kernel_gemm_xdl_waveletmodel_cshuffleINS_53GridwiseGemm_k0mk1_k0nk1_mn_xdl_waveletmodel_cshuffleIDF16_fDF16_DF16_NS_16tensor_operation12element_wise11PassThroughES4_S4_LNS_25InMemoryDataOperationEnumE0ENS_16TensorDescriptorINS_5TupleIJNS_5EmbedINS7_IJiiEEENS7_IJiNS_17integral_constantIiLi1EEEEEELb0EEENS_11PassThroughIiEESF_EEENS7_IJNS_8SequenceIJLi0EEEENSH_IJLi1EEEENSH_IJLi2EEEEEEENS7_IJNSH_IJLi1ELi2EEEENSH_IJLi3EEEENSH_IJLi4EEEEEEENSH_IJLi3ELi4EEEElEESR_SR_Li1ELi256ELi256ELi256ELi128ELi32ELi8ELi8ELi16ELi16ELi8ELi2ENSH_IJLi4ELi64ELi1EEEENSH_IJLi1ELi0ELi2EEEEST_Li2ELi8ELi8ELb0ELi1ESS_ST_ST_Li2ELi8ELi8ELb0ELi1ELi1ELi1ENSH_IJLi1ELi32ELi1ELi8EEEELi4EEEDF16_DF16_S4_S4_S4_NS6_INS7_IJSD_SF_SF_NS_7UnMergeINS7_IJiNSA_IiLi8EEEEEELb0EEESF_EEENS7_IJSI_SJ_SK_SO_SN_EEENS7_IJSM_SN_SO_NSH_IJLi5ELi6EEEENSH_IJLi7EEEEEEENSH_IJLi5ELi7ELi6EEEElEES16_NS6_INS7_IJSD_SF_SF_NSW_INS7_IJiNSA_IiLi256EEEEEELb0EEENSW_INS7_IJiNSA_IiLi128EEEEEELb0EEEEEENS7_IJSI_SJ_SK_SN_SO_EEENS7_IJSM_SN_SO_S12_NSH_IJLi7ELi8EEEEEEENSH_IJLi5ELi6ELi7ELi8EEEElEENS_13TensorAdaptorINS7_IJNSW_ISC_Lb0EEES1K_NS_23Merge_v2_magic_divisionINS7_IJiiSB_SB_EEEEEEEENS7_IJSI_SJ_NSH_IJLi2ELi3ELi4ELi5EEEEEEENS7_IJNSH_IJLi2ELi4EEEENSH_IJLi3ELi5EEEENSH_IJLi6EEEEEEENSH_IJLi0ELi1EEEES1T_EELb0EEEvPKT0_S1Z_PT1_T2_T3_T4_T5_T6_T7_T8_,"axG",@progbits,_ZN2ck37kernel_gemm_xdl_waveletmodel_cshuffleINS_53GridwiseGemm_k0mk1_k0nk1_mn_xdl_waveletmodel_cshuffleIDF16_fDF16_DF16_NS_16tensor_operation12element_wise11PassThroughES4_S4_LNS_25InMemoryDataOperationEnumE0ENS_16TensorDescriptorINS_5TupleIJNS_5EmbedINS7_IJiiEEENS7_IJiNS_17integral_constantIiLi1EEEEEELb0EEENS_11PassThroughIiEESF_EEENS7_IJNS_8SequenceIJLi0EEEENSH_IJLi1EEEENSH_IJLi2EEEEEEENS7_IJNSH_IJLi1ELi2EEEENSH_IJLi3EEEENSH_IJLi4EEEEEEENSH_IJLi3ELi4EEEElEESR_SR_Li1ELi256ELi256ELi256ELi128ELi32ELi8ELi8ELi16ELi16ELi8ELi2ENSH_IJLi4ELi64ELi1EEEENSH_IJLi1ELi0ELi2EEEEST_Li2ELi8ELi8ELb0ELi1ESS_ST_ST_Li2ELi8ELi8ELb0ELi1ELi1ELi1ENSH_IJLi1ELi32ELi1ELi8EEEELi4EEEDF16_DF16_S4_S4_S4_NS6_INS7_IJSD_SF_SF_NS_7UnMergeINS7_IJiNSA_IiLi8EEEEEELb0EEESF_EEENS7_IJSI_SJ_SK_SO_SN_EEENS7_IJSM_SN_SO_NSH_IJLi5ELi6EEEENSH_IJLi7EEEEEEENSH_IJLi5ELi7ELi6EEEElEES16_NS6_INS7_IJSD_SF_SF_NSW_INS7_IJiNSA_IiLi256EEEEEELb0EEENSW_INS7_IJiNSA_IiLi128EEEEEELb0EEEEEENS7_IJSI_SJ_SK_SN_SO_EEENS7_IJSM_SN_SO_S12_NSH_IJLi7ELi8EEEEEEENSH_IJLi5ELi6ELi7ELi8EEEElEENS_13TensorAdaptorINS7_IJNSW_ISC_Lb0EEES1K_NS_23Merge_v2_magic_divisionINS7_IJiiSB_SB_EEEEEEEENS7_IJSI_SJ_NSH_IJLi2ELi3ELi4ELi5EEEEEEENS7_IJNSH_IJLi2ELi4EEEENSH_IJLi3ELi5EEEENSH_IJLi6EEEEEEENSH_IJLi0ELi1EEEES1T_EELb0EEEvPKT0_S1Z_PT1_T2_T3_T4_T5_T6_T7_T8_,comdat
.Lfunc_end4:
	.size	_ZN2ck37kernel_gemm_xdl_waveletmodel_cshuffleINS_53GridwiseGemm_k0mk1_k0nk1_mn_xdl_waveletmodel_cshuffleIDF16_fDF16_DF16_NS_16tensor_operation12element_wise11PassThroughES4_S4_LNS_25InMemoryDataOperationEnumE0ENS_16TensorDescriptorINS_5TupleIJNS_5EmbedINS7_IJiiEEENS7_IJiNS_17integral_constantIiLi1EEEEEELb0EEENS_11PassThroughIiEESF_EEENS7_IJNS_8SequenceIJLi0EEEENSH_IJLi1EEEENSH_IJLi2EEEEEEENS7_IJNSH_IJLi1ELi2EEEENSH_IJLi3EEEENSH_IJLi4EEEEEEENSH_IJLi3ELi4EEEElEESR_SR_Li1ELi256ELi256ELi256ELi128ELi32ELi8ELi8ELi16ELi16ELi8ELi2ENSH_IJLi4ELi64ELi1EEEENSH_IJLi1ELi0ELi2EEEEST_Li2ELi8ELi8ELb0ELi1ESS_ST_ST_Li2ELi8ELi8ELb0ELi1ELi1ELi1ENSH_IJLi1ELi32ELi1ELi8EEEELi4EEEDF16_DF16_S4_S4_S4_NS6_INS7_IJSD_SF_SF_NS_7UnMergeINS7_IJiNSA_IiLi8EEEEEELb0EEESF_EEENS7_IJSI_SJ_SK_SO_SN_EEENS7_IJSM_SN_SO_NSH_IJLi5ELi6EEEENSH_IJLi7EEEEEEENSH_IJLi5ELi7ELi6EEEElEES16_NS6_INS7_IJSD_SF_SF_NSW_INS7_IJiNSA_IiLi256EEEEEELb0EEENSW_INS7_IJiNSA_IiLi128EEEEEELb0EEEEEENS7_IJSI_SJ_SK_SN_SO_EEENS7_IJSM_SN_SO_S12_NSH_IJLi7ELi8EEEEEEENSH_IJLi5ELi6ELi7ELi8EEEElEENS_13TensorAdaptorINS7_IJNSW_ISC_Lb0EEES1K_NS_23Merge_v2_magic_divisionINS7_IJiiSB_SB_EEEEEEEENS7_IJSI_SJ_NSH_IJLi2ELi3ELi4ELi5EEEEEEENS7_IJNSH_IJLi2ELi4EEEENSH_IJLi3ELi5EEEENSH_IJLi6EEEEEEENSH_IJLi0ELi1EEEES1T_EELb0EEEvPKT0_S1Z_PT1_T2_T3_T4_T5_T6_T7_T8_, .Lfunc_end4-_ZN2ck37kernel_gemm_xdl_waveletmodel_cshuffleINS_53GridwiseGemm_k0mk1_k0nk1_mn_xdl_waveletmodel_cshuffleIDF16_fDF16_DF16_NS_16tensor_operation12element_wise11PassThroughES4_S4_LNS_25InMemoryDataOperationEnumE0ENS_16TensorDescriptorINS_5TupleIJNS_5EmbedINS7_IJiiEEENS7_IJiNS_17integral_constantIiLi1EEEEEELb0EEENS_11PassThroughIiEESF_EEENS7_IJNS_8SequenceIJLi0EEEENSH_IJLi1EEEENSH_IJLi2EEEEEEENS7_IJNSH_IJLi1ELi2EEEENSH_IJLi3EEEENSH_IJLi4EEEEEEENSH_IJLi3ELi4EEEElEESR_SR_Li1ELi256ELi256ELi256ELi128ELi32ELi8ELi8ELi16ELi16ELi8ELi2ENSH_IJLi4ELi64ELi1EEEENSH_IJLi1ELi0ELi2EEEEST_Li2ELi8ELi8ELb0ELi1ESS_ST_ST_Li2ELi8ELi8ELb0ELi1ELi1ELi1ENSH_IJLi1ELi32ELi1ELi8EEEELi4EEEDF16_DF16_S4_S4_S4_NS6_INS7_IJSD_SF_SF_NS_7UnMergeINS7_IJiNSA_IiLi8EEEEEELb0EEESF_EEENS7_IJSI_SJ_SK_SO_SN_EEENS7_IJSM_SN_SO_NSH_IJLi5ELi6EEEENSH_IJLi7EEEEEEENSH_IJLi5ELi7ELi6EEEElEES16_NS6_INS7_IJSD_SF_SF_NSW_INS7_IJiNSA_IiLi256EEEEEELb0EEENSW_INS7_IJiNSA_IiLi128EEEEEELb0EEEEEENS7_IJSI_SJ_SK_SN_SO_EEENS7_IJSM_SN_SO_S12_NSH_IJLi7ELi8EEEEEEENSH_IJLi5ELi6ELi7ELi8EEEElEENS_13TensorAdaptorINS7_IJNSW_ISC_Lb0EEES1K_NS_23Merge_v2_magic_divisionINS7_IJiiSB_SB_EEEEEEEENS7_IJSI_SJ_NSH_IJLi2ELi3ELi4ELi5EEEEEEENS7_IJNSH_IJLi2ELi4EEEENSH_IJLi3ELi5EEEENSH_IJLi6EEEEEEENSH_IJLi0ELi1EEEES1T_EELb0EEEvPKT0_S1Z_PT1_T2_T3_T4_T5_T6_T7_T8_
                                        ; -- End function
	.set _ZN2ck37kernel_gemm_xdl_waveletmodel_cshuffleINS_53GridwiseGemm_k0mk1_k0nk1_mn_xdl_waveletmodel_cshuffleIDF16_fDF16_DF16_NS_16tensor_operation12element_wise11PassThroughES4_S4_LNS_25InMemoryDataOperationEnumE0ENS_16TensorDescriptorINS_5TupleIJNS_5EmbedINS7_IJiiEEENS7_IJiNS_17integral_constantIiLi1EEEEEELb0EEENS_11PassThroughIiEESF_EEENS7_IJNS_8SequenceIJLi0EEEENSH_IJLi1EEEENSH_IJLi2EEEEEEENS7_IJNSH_IJLi1ELi2EEEENSH_IJLi3EEEENSH_IJLi4EEEEEEENSH_IJLi3ELi4EEEElEESR_SR_Li1ELi256ELi256ELi256ELi128ELi32ELi8ELi8ELi16ELi16ELi8ELi2ENSH_IJLi4ELi64ELi1EEEENSH_IJLi1ELi0ELi2EEEEST_Li2ELi8ELi8ELb0ELi1ESS_ST_ST_Li2ELi8ELi8ELb0ELi1ELi1ELi1ENSH_IJLi1ELi32ELi1ELi8EEEELi4EEEDF16_DF16_S4_S4_S4_NS6_INS7_IJSD_SF_SF_NS_7UnMergeINS7_IJiNSA_IiLi8EEEEEELb0EEESF_EEENS7_IJSI_SJ_SK_SO_SN_EEENS7_IJSM_SN_SO_NSH_IJLi5ELi6EEEENSH_IJLi7EEEEEEENSH_IJLi5ELi7ELi6EEEElEES16_NS6_INS7_IJSD_SF_SF_NSW_INS7_IJiNSA_IiLi256EEEEEELb0EEENSW_INS7_IJiNSA_IiLi128EEEEEELb0EEEEEENS7_IJSI_SJ_SK_SN_SO_EEENS7_IJSM_SN_SO_S12_NSH_IJLi7ELi8EEEEEEENSH_IJLi5ELi6ELi7ELi8EEEElEENS_13TensorAdaptorINS7_IJNSW_ISC_Lb0EEES1K_NS_23Merge_v2_magic_divisionINS7_IJiiSB_SB_EEEEEEEENS7_IJSI_SJ_NSH_IJLi2ELi3ELi4ELi5EEEEEEENS7_IJNSH_IJLi2ELi4EEEENSH_IJLi3ELi5EEEENSH_IJLi6EEEEEEENSH_IJLi0ELi1EEEES1T_EELb0EEEvPKT0_S1Z_PT1_T2_T3_T4_T5_T6_T7_T8_.num_vgpr, 96
	.set _ZN2ck37kernel_gemm_xdl_waveletmodel_cshuffleINS_53GridwiseGemm_k0mk1_k0nk1_mn_xdl_waveletmodel_cshuffleIDF16_fDF16_DF16_NS_16tensor_operation12element_wise11PassThroughES4_S4_LNS_25InMemoryDataOperationEnumE0ENS_16TensorDescriptorINS_5TupleIJNS_5EmbedINS7_IJiiEEENS7_IJiNS_17integral_constantIiLi1EEEEEELb0EEENS_11PassThroughIiEESF_EEENS7_IJNS_8SequenceIJLi0EEEENSH_IJLi1EEEENSH_IJLi2EEEEEEENS7_IJNSH_IJLi1ELi2EEEENSH_IJLi3EEEENSH_IJLi4EEEEEEENSH_IJLi3ELi4EEEElEESR_SR_Li1ELi256ELi256ELi256ELi128ELi32ELi8ELi8ELi16ELi16ELi8ELi2ENSH_IJLi4ELi64ELi1EEEENSH_IJLi1ELi0ELi2EEEEST_Li2ELi8ELi8ELb0ELi1ESS_ST_ST_Li2ELi8ELi8ELb0ELi1ELi1ELi1ENSH_IJLi1ELi32ELi1ELi8EEEELi4EEEDF16_DF16_S4_S4_S4_NS6_INS7_IJSD_SF_SF_NS_7UnMergeINS7_IJiNSA_IiLi8EEEEEELb0EEESF_EEENS7_IJSI_SJ_SK_SO_SN_EEENS7_IJSM_SN_SO_NSH_IJLi5ELi6EEEENSH_IJLi7EEEEEEENSH_IJLi5ELi7ELi6EEEElEES16_NS6_INS7_IJSD_SF_SF_NSW_INS7_IJiNSA_IiLi256EEEEEELb0EEENSW_INS7_IJiNSA_IiLi128EEEEEELb0EEEEEENS7_IJSI_SJ_SK_SN_SO_EEENS7_IJSM_SN_SO_S12_NSH_IJLi7ELi8EEEEEEENSH_IJLi5ELi6ELi7ELi8EEEElEENS_13TensorAdaptorINS7_IJNSW_ISC_Lb0EEES1K_NS_23Merge_v2_magic_divisionINS7_IJiiSB_SB_EEEEEEEENS7_IJSI_SJ_NSH_IJLi2ELi3ELi4ELi5EEEEEEENS7_IJNSH_IJLi2ELi4EEEENSH_IJLi3ELi5EEEENSH_IJLi6EEEEEEENSH_IJLi0ELi1EEEES1T_EELb0EEEvPKT0_S1Z_PT1_T2_T3_T4_T5_T6_T7_T8_.num_agpr, 0
	.set _ZN2ck37kernel_gemm_xdl_waveletmodel_cshuffleINS_53GridwiseGemm_k0mk1_k0nk1_mn_xdl_waveletmodel_cshuffleIDF16_fDF16_DF16_NS_16tensor_operation12element_wise11PassThroughES4_S4_LNS_25InMemoryDataOperationEnumE0ENS_16TensorDescriptorINS_5TupleIJNS_5EmbedINS7_IJiiEEENS7_IJiNS_17integral_constantIiLi1EEEEEELb0EEENS_11PassThroughIiEESF_EEENS7_IJNS_8SequenceIJLi0EEEENSH_IJLi1EEEENSH_IJLi2EEEEEEENS7_IJNSH_IJLi1ELi2EEEENSH_IJLi3EEEENSH_IJLi4EEEEEEENSH_IJLi3ELi4EEEElEESR_SR_Li1ELi256ELi256ELi256ELi128ELi32ELi8ELi8ELi16ELi16ELi8ELi2ENSH_IJLi4ELi64ELi1EEEENSH_IJLi1ELi0ELi2EEEEST_Li2ELi8ELi8ELb0ELi1ESS_ST_ST_Li2ELi8ELi8ELb0ELi1ELi1ELi1ENSH_IJLi1ELi32ELi1ELi8EEEELi4EEEDF16_DF16_S4_S4_S4_NS6_INS7_IJSD_SF_SF_NS_7UnMergeINS7_IJiNSA_IiLi8EEEEEELb0EEESF_EEENS7_IJSI_SJ_SK_SO_SN_EEENS7_IJSM_SN_SO_NSH_IJLi5ELi6EEEENSH_IJLi7EEEEEEENSH_IJLi5ELi7ELi6EEEElEES16_NS6_INS7_IJSD_SF_SF_NSW_INS7_IJiNSA_IiLi256EEEEEELb0EEENSW_INS7_IJiNSA_IiLi128EEEEEELb0EEEEEENS7_IJSI_SJ_SK_SN_SO_EEENS7_IJSM_SN_SO_S12_NSH_IJLi7ELi8EEEEEEENSH_IJLi5ELi6ELi7ELi8EEEElEENS_13TensorAdaptorINS7_IJNSW_ISC_Lb0EEES1K_NS_23Merge_v2_magic_divisionINS7_IJiiSB_SB_EEEEEEEENS7_IJSI_SJ_NSH_IJLi2ELi3ELi4ELi5EEEEEEENS7_IJNSH_IJLi2ELi4EEEENSH_IJLi3ELi5EEEENSH_IJLi6EEEEEEENSH_IJLi0ELi1EEEES1T_EELb0EEEvPKT0_S1Z_PT1_T2_T3_T4_T5_T6_T7_T8_.numbered_sgpr, 13
	.set _ZN2ck37kernel_gemm_xdl_waveletmodel_cshuffleINS_53GridwiseGemm_k0mk1_k0nk1_mn_xdl_waveletmodel_cshuffleIDF16_fDF16_DF16_NS_16tensor_operation12element_wise11PassThroughES4_S4_LNS_25InMemoryDataOperationEnumE0ENS_16TensorDescriptorINS_5TupleIJNS_5EmbedINS7_IJiiEEENS7_IJiNS_17integral_constantIiLi1EEEEEELb0EEENS_11PassThroughIiEESF_EEENS7_IJNS_8SequenceIJLi0EEEENSH_IJLi1EEEENSH_IJLi2EEEEEEENS7_IJNSH_IJLi1ELi2EEEENSH_IJLi3EEEENSH_IJLi4EEEEEEENSH_IJLi3ELi4EEEElEESR_SR_Li1ELi256ELi256ELi256ELi128ELi32ELi8ELi8ELi16ELi16ELi8ELi2ENSH_IJLi4ELi64ELi1EEEENSH_IJLi1ELi0ELi2EEEEST_Li2ELi8ELi8ELb0ELi1ESS_ST_ST_Li2ELi8ELi8ELb0ELi1ELi1ELi1ENSH_IJLi1ELi32ELi1ELi8EEEELi4EEEDF16_DF16_S4_S4_S4_NS6_INS7_IJSD_SF_SF_NS_7UnMergeINS7_IJiNSA_IiLi8EEEEEELb0EEESF_EEENS7_IJSI_SJ_SK_SO_SN_EEENS7_IJSM_SN_SO_NSH_IJLi5ELi6EEEENSH_IJLi7EEEEEEENSH_IJLi5ELi7ELi6EEEElEES16_NS6_INS7_IJSD_SF_SF_NSW_INS7_IJiNSA_IiLi256EEEEEELb0EEENSW_INS7_IJiNSA_IiLi128EEEEEELb0EEEEEENS7_IJSI_SJ_SK_SN_SO_EEENS7_IJSM_SN_SO_S12_NSH_IJLi7ELi8EEEEEEENSH_IJLi5ELi6ELi7ELi8EEEElEENS_13TensorAdaptorINS7_IJNSW_ISC_Lb0EEES1K_NS_23Merge_v2_magic_divisionINS7_IJiiSB_SB_EEEEEEEENS7_IJSI_SJ_NSH_IJLi2ELi3ELi4ELi5EEEEEEENS7_IJNSH_IJLi2ELi4EEEENSH_IJLi3ELi5EEEENSH_IJLi6EEEEEEENSH_IJLi0ELi1EEEES1T_EELb0EEEvPKT0_S1Z_PT1_T2_T3_T4_T5_T6_T7_T8_.num_named_barrier, 0
	.set _ZN2ck37kernel_gemm_xdl_waveletmodel_cshuffleINS_53GridwiseGemm_k0mk1_k0nk1_mn_xdl_waveletmodel_cshuffleIDF16_fDF16_DF16_NS_16tensor_operation12element_wise11PassThroughES4_S4_LNS_25InMemoryDataOperationEnumE0ENS_16TensorDescriptorINS_5TupleIJNS_5EmbedINS7_IJiiEEENS7_IJiNS_17integral_constantIiLi1EEEEEELb0EEENS_11PassThroughIiEESF_EEENS7_IJNS_8SequenceIJLi0EEEENSH_IJLi1EEEENSH_IJLi2EEEEEEENS7_IJNSH_IJLi1ELi2EEEENSH_IJLi3EEEENSH_IJLi4EEEEEEENSH_IJLi3ELi4EEEElEESR_SR_Li1ELi256ELi256ELi256ELi128ELi32ELi8ELi8ELi16ELi16ELi8ELi2ENSH_IJLi4ELi64ELi1EEEENSH_IJLi1ELi0ELi2EEEEST_Li2ELi8ELi8ELb0ELi1ESS_ST_ST_Li2ELi8ELi8ELb0ELi1ELi1ELi1ENSH_IJLi1ELi32ELi1ELi8EEEELi4EEEDF16_DF16_S4_S4_S4_NS6_INS7_IJSD_SF_SF_NS_7UnMergeINS7_IJiNSA_IiLi8EEEEEELb0EEESF_EEENS7_IJSI_SJ_SK_SO_SN_EEENS7_IJSM_SN_SO_NSH_IJLi5ELi6EEEENSH_IJLi7EEEEEEENSH_IJLi5ELi7ELi6EEEElEES16_NS6_INS7_IJSD_SF_SF_NSW_INS7_IJiNSA_IiLi256EEEEEELb0EEENSW_INS7_IJiNSA_IiLi128EEEEEELb0EEEEEENS7_IJSI_SJ_SK_SN_SO_EEENS7_IJSM_SN_SO_S12_NSH_IJLi7ELi8EEEEEEENSH_IJLi5ELi6ELi7ELi8EEEElEENS_13TensorAdaptorINS7_IJNSW_ISC_Lb0EEES1K_NS_23Merge_v2_magic_divisionINS7_IJiiSB_SB_EEEEEEEENS7_IJSI_SJ_NSH_IJLi2ELi3ELi4ELi5EEEEEEENS7_IJNSH_IJLi2ELi4EEEENSH_IJLi3ELi5EEEENSH_IJLi6EEEEEEENSH_IJLi0ELi1EEEES1T_EELb0EEEvPKT0_S1Z_PT1_T2_T3_T4_T5_T6_T7_T8_.private_seg_size, 0
	.set _ZN2ck37kernel_gemm_xdl_waveletmodel_cshuffleINS_53GridwiseGemm_k0mk1_k0nk1_mn_xdl_waveletmodel_cshuffleIDF16_fDF16_DF16_NS_16tensor_operation12element_wise11PassThroughES4_S4_LNS_25InMemoryDataOperationEnumE0ENS_16TensorDescriptorINS_5TupleIJNS_5EmbedINS7_IJiiEEENS7_IJiNS_17integral_constantIiLi1EEEEEELb0EEENS_11PassThroughIiEESF_EEENS7_IJNS_8SequenceIJLi0EEEENSH_IJLi1EEEENSH_IJLi2EEEEEEENS7_IJNSH_IJLi1ELi2EEEENSH_IJLi3EEEENSH_IJLi4EEEEEEENSH_IJLi3ELi4EEEElEESR_SR_Li1ELi256ELi256ELi256ELi128ELi32ELi8ELi8ELi16ELi16ELi8ELi2ENSH_IJLi4ELi64ELi1EEEENSH_IJLi1ELi0ELi2EEEEST_Li2ELi8ELi8ELb0ELi1ESS_ST_ST_Li2ELi8ELi8ELb0ELi1ELi1ELi1ENSH_IJLi1ELi32ELi1ELi8EEEELi4EEEDF16_DF16_S4_S4_S4_NS6_INS7_IJSD_SF_SF_NS_7UnMergeINS7_IJiNSA_IiLi8EEEEEELb0EEESF_EEENS7_IJSI_SJ_SK_SO_SN_EEENS7_IJSM_SN_SO_NSH_IJLi5ELi6EEEENSH_IJLi7EEEEEEENSH_IJLi5ELi7ELi6EEEElEES16_NS6_INS7_IJSD_SF_SF_NSW_INS7_IJiNSA_IiLi256EEEEEELb0EEENSW_INS7_IJiNSA_IiLi128EEEEEELb0EEEEEENS7_IJSI_SJ_SK_SN_SO_EEENS7_IJSM_SN_SO_S12_NSH_IJLi7ELi8EEEEEEENSH_IJLi5ELi6ELi7ELi8EEEElEENS_13TensorAdaptorINS7_IJNSW_ISC_Lb0EEES1K_NS_23Merge_v2_magic_divisionINS7_IJiiSB_SB_EEEEEEEENS7_IJSI_SJ_NSH_IJLi2ELi3ELi4ELi5EEEEEEENS7_IJNSH_IJLi2ELi4EEEENSH_IJLi3ELi5EEEENSH_IJLi6EEEEEEENSH_IJLi0ELi1EEEES1T_EELb0EEEvPKT0_S1Z_PT1_T2_T3_T4_T5_T6_T7_T8_.uses_vcc, 0
	.set _ZN2ck37kernel_gemm_xdl_waveletmodel_cshuffleINS_53GridwiseGemm_k0mk1_k0nk1_mn_xdl_waveletmodel_cshuffleIDF16_fDF16_DF16_NS_16tensor_operation12element_wise11PassThroughES4_S4_LNS_25InMemoryDataOperationEnumE0ENS_16TensorDescriptorINS_5TupleIJNS_5EmbedINS7_IJiiEEENS7_IJiNS_17integral_constantIiLi1EEEEEELb0EEENS_11PassThroughIiEESF_EEENS7_IJNS_8SequenceIJLi0EEEENSH_IJLi1EEEENSH_IJLi2EEEEEEENS7_IJNSH_IJLi1ELi2EEEENSH_IJLi3EEEENSH_IJLi4EEEEEEENSH_IJLi3ELi4EEEElEESR_SR_Li1ELi256ELi256ELi256ELi128ELi32ELi8ELi8ELi16ELi16ELi8ELi2ENSH_IJLi4ELi64ELi1EEEENSH_IJLi1ELi0ELi2EEEEST_Li2ELi8ELi8ELb0ELi1ESS_ST_ST_Li2ELi8ELi8ELb0ELi1ELi1ELi1ENSH_IJLi1ELi32ELi1ELi8EEEELi4EEEDF16_DF16_S4_S4_S4_NS6_INS7_IJSD_SF_SF_NS_7UnMergeINS7_IJiNSA_IiLi8EEEEEELb0EEESF_EEENS7_IJSI_SJ_SK_SO_SN_EEENS7_IJSM_SN_SO_NSH_IJLi5ELi6EEEENSH_IJLi7EEEEEEENSH_IJLi5ELi7ELi6EEEElEES16_NS6_INS7_IJSD_SF_SF_NSW_INS7_IJiNSA_IiLi256EEEEEELb0EEENSW_INS7_IJiNSA_IiLi128EEEEEELb0EEEEEENS7_IJSI_SJ_SK_SN_SO_EEENS7_IJSM_SN_SO_S12_NSH_IJLi7ELi8EEEEEEENSH_IJLi5ELi6ELi7ELi8EEEElEENS_13TensorAdaptorINS7_IJNSW_ISC_Lb0EEES1K_NS_23Merge_v2_magic_divisionINS7_IJiiSB_SB_EEEEEEEENS7_IJSI_SJ_NSH_IJLi2ELi3ELi4ELi5EEEEEEENS7_IJNSH_IJLi2ELi4EEEENSH_IJLi3ELi5EEEENSH_IJLi6EEEEEEENSH_IJLi0ELi1EEEES1T_EELb0EEEvPKT0_S1Z_PT1_T2_T3_T4_T5_T6_T7_T8_.uses_flat_scratch, 0
	.set _ZN2ck37kernel_gemm_xdl_waveletmodel_cshuffleINS_53GridwiseGemm_k0mk1_k0nk1_mn_xdl_waveletmodel_cshuffleIDF16_fDF16_DF16_NS_16tensor_operation12element_wise11PassThroughES4_S4_LNS_25InMemoryDataOperationEnumE0ENS_16TensorDescriptorINS_5TupleIJNS_5EmbedINS7_IJiiEEENS7_IJiNS_17integral_constantIiLi1EEEEEELb0EEENS_11PassThroughIiEESF_EEENS7_IJNS_8SequenceIJLi0EEEENSH_IJLi1EEEENSH_IJLi2EEEEEEENS7_IJNSH_IJLi1ELi2EEEENSH_IJLi3EEEENSH_IJLi4EEEEEEENSH_IJLi3ELi4EEEElEESR_SR_Li1ELi256ELi256ELi256ELi128ELi32ELi8ELi8ELi16ELi16ELi8ELi2ENSH_IJLi4ELi64ELi1EEEENSH_IJLi1ELi0ELi2EEEEST_Li2ELi8ELi8ELb0ELi1ESS_ST_ST_Li2ELi8ELi8ELb0ELi1ELi1ELi1ENSH_IJLi1ELi32ELi1ELi8EEEELi4EEEDF16_DF16_S4_S4_S4_NS6_INS7_IJSD_SF_SF_NS_7UnMergeINS7_IJiNSA_IiLi8EEEEEELb0EEESF_EEENS7_IJSI_SJ_SK_SO_SN_EEENS7_IJSM_SN_SO_NSH_IJLi5ELi6EEEENSH_IJLi7EEEEEEENSH_IJLi5ELi7ELi6EEEElEES16_NS6_INS7_IJSD_SF_SF_NSW_INS7_IJiNSA_IiLi256EEEEEELb0EEENSW_INS7_IJiNSA_IiLi128EEEEEELb0EEEEEENS7_IJSI_SJ_SK_SN_SO_EEENS7_IJSM_SN_SO_S12_NSH_IJLi7ELi8EEEEEEENSH_IJLi5ELi6ELi7ELi8EEEElEENS_13TensorAdaptorINS7_IJNSW_ISC_Lb0EEES1K_NS_23Merge_v2_magic_divisionINS7_IJiiSB_SB_EEEEEEEENS7_IJSI_SJ_NSH_IJLi2ELi3ELi4ELi5EEEEEEENS7_IJNSH_IJLi2ELi4EEEENSH_IJLi3ELi5EEEENSH_IJLi6EEEEEEENSH_IJLi0ELi1EEEES1T_EELb0EEEvPKT0_S1Z_PT1_T2_T3_T4_T5_T6_T7_T8_.has_dyn_sized_stack, 0
	.set _ZN2ck37kernel_gemm_xdl_waveletmodel_cshuffleINS_53GridwiseGemm_k0mk1_k0nk1_mn_xdl_waveletmodel_cshuffleIDF16_fDF16_DF16_NS_16tensor_operation12element_wise11PassThroughES4_S4_LNS_25InMemoryDataOperationEnumE0ENS_16TensorDescriptorINS_5TupleIJNS_5EmbedINS7_IJiiEEENS7_IJiNS_17integral_constantIiLi1EEEEEELb0EEENS_11PassThroughIiEESF_EEENS7_IJNS_8SequenceIJLi0EEEENSH_IJLi1EEEENSH_IJLi2EEEEEEENS7_IJNSH_IJLi1ELi2EEEENSH_IJLi3EEEENSH_IJLi4EEEEEEENSH_IJLi3ELi4EEEElEESR_SR_Li1ELi256ELi256ELi256ELi128ELi32ELi8ELi8ELi16ELi16ELi8ELi2ENSH_IJLi4ELi64ELi1EEEENSH_IJLi1ELi0ELi2EEEEST_Li2ELi8ELi8ELb0ELi1ESS_ST_ST_Li2ELi8ELi8ELb0ELi1ELi1ELi1ENSH_IJLi1ELi32ELi1ELi8EEEELi4EEEDF16_DF16_S4_S4_S4_NS6_INS7_IJSD_SF_SF_NS_7UnMergeINS7_IJiNSA_IiLi8EEEEEELb0EEESF_EEENS7_IJSI_SJ_SK_SO_SN_EEENS7_IJSM_SN_SO_NSH_IJLi5ELi6EEEENSH_IJLi7EEEEEEENSH_IJLi5ELi7ELi6EEEElEES16_NS6_INS7_IJSD_SF_SF_NSW_INS7_IJiNSA_IiLi256EEEEEELb0EEENSW_INS7_IJiNSA_IiLi128EEEEEELb0EEEEEENS7_IJSI_SJ_SK_SN_SO_EEENS7_IJSM_SN_SO_S12_NSH_IJLi7ELi8EEEEEEENSH_IJLi5ELi6ELi7ELi8EEEElEENS_13TensorAdaptorINS7_IJNSW_ISC_Lb0EEES1K_NS_23Merge_v2_magic_divisionINS7_IJiiSB_SB_EEEEEEEENS7_IJSI_SJ_NSH_IJLi2ELi3ELi4ELi5EEEEEEENS7_IJNSH_IJLi2ELi4EEEENSH_IJLi3ELi5EEEENSH_IJLi6EEEEEEENSH_IJLi0ELi1EEEES1T_EELb0EEEvPKT0_S1Z_PT1_T2_T3_T4_T5_T6_T7_T8_.has_recursion, 0
	.set _ZN2ck37kernel_gemm_xdl_waveletmodel_cshuffleINS_53GridwiseGemm_k0mk1_k0nk1_mn_xdl_waveletmodel_cshuffleIDF16_fDF16_DF16_NS_16tensor_operation12element_wise11PassThroughES4_S4_LNS_25InMemoryDataOperationEnumE0ENS_16TensorDescriptorINS_5TupleIJNS_5EmbedINS7_IJiiEEENS7_IJiNS_17integral_constantIiLi1EEEEEELb0EEENS_11PassThroughIiEESF_EEENS7_IJNS_8SequenceIJLi0EEEENSH_IJLi1EEEENSH_IJLi2EEEEEEENS7_IJNSH_IJLi1ELi2EEEENSH_IJLi3EEEENSH_IJLi4EEEEEEENSH_IJLi3ELi4EEEElEESR_SR_Li1ELi256ELi256ELi256ELi128ELi32ELi8ELi8ELi16ELi16ELi8ELi2ENSH_IJLi4ELi64ELi1EEEENSH_IJLi1ELi0ELi2EEEEST_Li2ELi8ELi8ELb0ELi1ESS_ST_ST_Li2ELi8ELi8ELb0ELi1ELi1ELi1ENSH_IJLi1ELi32ELi1ELi8EEEELi4EEEDF16_DF16_S4_S4_S4_NS6_INS7_IJSD_SF_SF_NS_7UnMergeINS7_IJiNSA_IiLi8EEEEEELb0EEESF_EEENS7_IJSI_SJ_SK_SO_SN_EEENS7_IJSM_SN_SO_NSH_IJLi5ELi6EEEENSH_IJLi7EEEEEEENSH_IJLi5ELi7ELi6EEEElEES16_NS6_INS7_IJSD_SF_SF_NSW_INS7_IJiNSA_IiLi256EEEEEELb0EEENSW_INS7_IJiNSA_IiLi128EEEEEELb0EEEEEENS7_IJSI_SJ_SK_SN_SO_EEENS7_IJSM_SN_SO_S12_NSH_IJLi7ELi8EEEEEEENSH_IJLi5ELi6ELi7ELi8EEEElEENS_13TensorAdaptorINS7_IJNSW_ISC_Lb0EEES1K_NS_23Merge_v2_magic_divisionINS7_IJiiSB_SB_EEEEEEEENS7_IJSI_SJ_NSH_IJLi2ELi3ELi4ELi5EEEEEEENS7_IJNSH_IJLi2ELi4EEEENSH_IJLi3ELi5EEEENSH_IJLi6EEEEEEENSH_IJLi0ELi1EEEES1T_EELb0EEEvPKT0_S1Z_PT1_T2_T3_T4_T5_T6_T7_T8_.has_indirect_call, 0
	.section	.AMDGPU.csdata,"",@progbits
; Kernel info:
; codeLenInByte = 3804
; TotalNumSgprs: 13
; NumVgprs: 96
; ScratchSize: 0
; MemoryBound: 0
; FloatMode: 240
; IeeeMode: 1
; LDSByteSize: 24672 bytes/workgroup (compile time only)
; SGPRBlocks: 0
; VGPRBlocks: 11
; NumSGPRsForWavesPerEU: 13
; NumVGPRsForWavesPerEU: 96
; Occupancy: 16
; WaveLimiterHint : 0
; COMPUTE_PGM_RSRC2:SCRATCH_EN: 0
; COMPUTE_PGM_RSRC2:USER_SGPR: 2
; COMPUTE_PGM_RSRC2:TRAP_HANDLER: 0
; COMPUTE_PGM_RSRC2:TGID_X_EN: 1
; COMPUTE_PGM_RSRC2:TGID_Y_EN: 0
; COMPUTE_PGM_RSRC2:TGID_Z_EN: 0
; COMPUTE_PGM_RSRC2:TIDIG_COMP_CNT: 0
	.section	.text._ZN2ck17naive_gemm_kernelINS_13tensor_layout4gemm8RowMajorENS2_11ColumnMajorES3_DF16_DF16_DF16_fNS_16tensor_operation12element_wise11PassThroughES7_S7_DF16_DF16_EEvPKT2_PKT3_PT4_iiiT6_T7_T8_,"axG",@progbits,_ZN2ck17naive_gemm_kernelINS_13tensor_layout4gemm8RowMajorENS2_11ColumnMajorES3_DF16_DF16_DF16_fNS_16tensor_operation12element_wise11PassThroughES7_S7_DF16_DF16_EEvPKT2_PKT3_PT4_iiiT6_T7_T8_,comdat
	.protected	_ZN2ck17naive_gemm_kernelINS_13tensor_layout4gemm8RowMajorENS2_11ColumnMajorES3_DF16_DF16_DF16_fNS_16tensor_operation12element_wise11PassThroughES7_S7_DF16_DF16_EEvPKT2_PKT3_PT4_iiiT6_T7_T8_ ; -- Begin function _ZN2ck17naive_gemm_kernelINS_13tensor_layout4gemm8RowMajorENS2_11ColumnMajorES3_DF16_DF16_DF16_fNS_16tensor_operation12element_wise11PassThroughES7_S7_DF16_DF16_EEvPKT2_PKT3_PT4_iiiT6_T7_T8_
	.globl	_ZN2ck17naive_gemm_kernelINS_13tensor_layout4gemm8RowMajorENS2_11ColumnMajorES3_DF16_DF16_DF16_fNS_16tensor_operation12element_wise11PassThroughES7_S7_DF16_DF16_EEvPKT2_PKT3_PT4_iiiT6_T7_T8_
	.p2align	8
	.type	_ZN2ck17naive_gemm_kernelINS_13tensor_layout4gemm8RowMajorENS2_11ColumnMajorES3_DF16_DF16_DF16_fNS_16tensor_operation12element_wise11PassThroughES7_S7_DF16_DF16_EEvPKT2_PKT3_PT4_iiiT6_T7_T8_,@function
_ZN2ck17naive_gemm_kernelINS_13tensor_layout4gemm8RowMajorENS2_11ColumnMajorES3_DF16_DF16_DF16_fNS_16tensor_operation12element_wise11PassThroughES7_S7_DF16_DF16_EEvPKT2_PKT3_PT4_iiiT6_T7_T8_: ; @_ZN2ck17naive_gemm_kernelINS_13tensor_layout4gemm8RowMajorENS2_11ColumnMajorES3_DF16_DF16_DF16_fNS_16tensor_operation12element_wise11PassThroughES7_S7_DF16_DF16_EEvPKT2_PKT3_PT4_iiiT6_T7_T8_
; %bb.0:
	s_clause 0x1
	s_load_b32 s2, s[0:1], 0x34
	s_load_b96 s[4:6], s[0:1], 0x18
	v_and_b32_e32 v1, 0x3ff, v0
	v_bfe_u32 v2, v0, 10, 10
	s_wait_kmcnt 0x0
	s_lshr_b32 s3, s2, 16
	s_and_b32 s2, s2, 0xffff
	s_delay_alu instid0(VALU_DEP_1) | instid1(SALU_CYCLE_1)
	v_mad_co_u64_u32 v[0:1], null, ttmp9, s2, v[1:2]
	v_mad_co_u64_u32 v[1:2], null, ttmp7, s3, v[2:3]
	s_delay_alu instid0(VALU_DEP_2) | instskip(NEXT) | instid1(VALU_DEP_2)
	v_cmp_gt_i32_e32 vcc_lo, s4, v0
	v_cmp_gt_i32_e64 s2, s5, v1
	s_and_b32 s2, vcc_lo, s2
	s_wait_alu 0xfffe
	s_and_saveexec_b32 s3, s2
	s_cbranch_execz .LBB5_7
; %bb.1:
	s_load_b64 s[2:3], s[0:1], 0x10
	s_cmp_lt_i32 s6, 1
	s_cbranch_scc1 .LBB5_5
; %bb.2:
	s_load_b128 s[8:11], s[0:1], 0x0
	v_mul_lo_u32 v2, v1, s6
	v_mul_lo_u32 v4, v0, s6
	v_mov_b32_e32 v6, 0
	s_delay_alu instid0(VALU_DEP_3) | instskip(NEXT) | instid1(VALU_DEP_3)
	v_ashrrev_i32_e32 v3, 31, v2
	v_ashrrev_i32_e32 v5, 31, v4
	s_delay_alu instid0(VALU_DEP_2) | instskip(NEXT) | instid1(VALU_DEP_2)
	v_lshlrev_b64_e32 v[2:3], 1, v[2:3]
	v_lshlrev_b64_e32 v[4:5], 1, v[4:5]
	s_wait_kmcnt 0x0
	s_delay_alu instid0(VALU_DEP_2) | instskip(NEXT) | instid1(VALU_DEP_1)
	v_add_co_u32 v2, vcc_lo, s10, v2
	v_add_co_ci_u32_e64 v3, null, s11, v3, vcc_lo
	s_delay_alu instid0(VALU_DEP_3)
	v_add_co_u32 v4, vcc_lo, s8, v4
	s_wait_alu 0xfffd
	v_add_co_ci_u32_e64 v5, null, s9, v5, vcc_lo
.LBB5_3:                                ; =>This Inner Loop Header: Depth=1
	global_load_u16 v7, v[4:5], off
	global_load_u16 v8, v[2:3], off
	v_add_co_u32 v2, vcc_lo, v2, 2
	s_wait_alu 0xfffd
	v_add_co_ci_u32_e64 v3, null, 0, v3, vcc_lo
	v_add_co_u32 v4, vcc_lo, v4, 2
	s_wait_alu 0xfffd
	v_add_co_ci_u32_e64 v5, null, 0, v5, vcc_lo
	s_add_co_i32 s6, s6, -1
	s_wait_alu 0xfffe
	s_cmp_eq_u32 s6, 0
	s_wait_loadcnt 0x0
	v_fma_mix_f32 v6, v7, v8, v6 op_sel_hi:[1,1,0]
	s_cbranch_scc0 .LBB5_3
; %bb.4:
	s_delay_alu instid0(VALU_DEP_1)
	v_cvt_f16_f32_e32 v2, v6
	s_branch .LBB5_6
.LBB5_5:
	v_mov_b32_e32 v2, 0
.LBB5_6:
	s_delay_alu instid0(VALU_DEP_1) | instskip(NEXT) | instid1(VALU_DEP_1)
	v_mad_co_u64_u32 v[0:1], null, v0, s5, v[1:2]
	v_ashrrev_i32_e32 v1, 31, v0
	s_delay_alu instid0(VALU_DEP_1) | instskip(SKIP_1) | instid1(VALU_DEP_1)
	v_lshlrev_b64_e32 v[0:1], 1, v[0:1]
	s_wait_kmcnt 0x0
	v_add_co_u32 v0, vcc_lo, s2, v0
	s_wait_alu 0xfffd
	s_delay_alu instid0(VALU_DEP_2)
	v_add_co_ci_u32_e64 v1, null, s3, v1, vcc_lo
	global_store_b16 v[0:1], v2, off
.LBB5_7:
	s_endpgm
	.section	.rodata,"a",@progbits
	.p2align	6, 0x0
	.amdhsa_kernel _ZN2ck17naive_gemm_kernelINS_13tensor_layout4gemm8RowMajorENS2_11ColumnMajorES3_DF16_DF16_DF16_fNS_16tensor_operation12element_wise11PassThroughES7_S7_DF16_DF16_EEvPKT2_PKT3_PT4_iiiT6_T7_T8_
		.amdhsa_group_segment_fixed_size 0
		.amdhsa_private_segment_fixed_size 0
		.amdhsa_kernarg_size 296
		.amdhsa_user_sgpr_count 2
		.amdhsa_user_sgpr_dispatch_ptr 0
		.amdhsa_user_sgpr_queue_ptr 0
		.amdhsa_user_sgpr_kernarg_segment_ptr 1
		.amdhsa_user_sgpr_dispatch_id 0
		.amdhsa_user_sgpr_private_segment_size 0
		.amdhsa_wavefront_size32 1
		.amdhsa_uses_dynamic_stack 0
		.amdhsa_enable_private_segment 0
		.amdhsa_system_sgpr_workgroup_id_x 1
		.amdhsa_system_sgpr_workgroup_id_y 1
		.amdhsa_system_sgpr_workgroup_id_z 0
		.amdhsa_system_sgpr_workgroup_info 0
		.amdhsa_system_vgpr_workitem_id 1
		.amdhsa_next_free_vgpr 9
		.amdhsa_next_free_sgpr 12
		.amdhsa_reserve_vcc 1
		.amdhsa_float_round_mode_32 0
		.amdhsa_float_round_mode_16_64 0
		.amdhsa_float_denorm_mode_32 3
		.amdhsa_float_denorm_mode_16_64 3
		.amdhsa_fp16_overflow 0
		.amdhsa_workgroup_processor_mode 1
		.amdhsa_memory_ordered 1
		.amdhsa_forward_progress 1
		.amdhsa_inst_pref_size 4
		.amdhsa_round_robin_scheduling 0
		.amdhsa_exception_fp_ieee_invalid_op 0
		.amdhsa_exception_fp_denorm_src 0
		.amdhsa_exception_fp_ieee_div_zero 0
		.amdhsa_exception_fp_ieee_overflow 0
		.amdhsa_exception_fp_ieee_underflow 0
		.amdhsa_exception_fp_ieee_inexact 0
		.amdhsa_exception_int_div_zero 0
	.end_amdhsa_kernel
	.section	.text._ZN2ck17naive_gemm_kernelINS_13tensor_layout4gemm8RowMajorENS2_11ColumnMajorES3_DF16_DF16_DF16_fNS_16tensor_operation12element_wise11PassThroughES7_S7_DF16_DF16_EEvPKT2_PKT3_PT4_iiiT6_T7_T8_,"axG",@progbits,_ZN2ck17naive_gemm_kernelINS_13tensor_layout4gemm8RowMajorENS2_11ColumnMajorES3_DF16_DF16_DF16_fNS_16tensor_operation12element_wise11PassThroughES7_S7_DF16_DF16_EEvPKT2_PKT3_PT4_iiiT6_T7_T8_,comdat
.Lfunc_end5:
	.size	_ZN2ck17naive_gemm_kernelINS_13tensor_layout4gemm8RowMajorENS2_11ColumnMajorES3_DF16_DF16_DF16_fNS_16tensor_operation12element_wise11PassThroughES7_S7_DF16_DF16_EEvPKT2_PKT3_PT4_iiiT6_T7_T8_, .Lfunc_end5-_ZN2ck17naive_gemm_kernelINS_13tensor_layout4gemm8RowMajorENS2_11ColumnMajorES3_DF16_DF16_DF16_fNS_16tensor_operation12element_wise11PassThroughES7_S7_DF16_DF16_EEvPKT2_PKT3_PT4_iiiT6_T7_T8_
                                        ; -- End function
	.set _ZN2ck17naive_gemm_kernelINS_13tensor_layout4gemm8RowMajorENS2_11ColumnMajorES3_DF16_DF16_DF16_fNS_16tensor_operation12element_wise11PassThroughES7_S7_DF16_DF16_EEvPKT2_PKT3_PT4_iiiT6_T7_T8_.num_vgpr, 9
	.set _ZN2ck17naive_gemm_kernelINS_13tensor_layout4gemm8RowMajorENS2_11ColumnMajorES3_DF16_DF16_DF16_fNS_16tensor_operation12element_wise11PassThroughES7_S7_DF16_DF16_EEvPKT2_PKT3_PT4_iiiT6_T7_T8_.num_agpr, 0
	.set _ZN2ck17naive_gemm_kernelINS_13tensor_layout4gemm8RowMajorENS2_11ColumnMajorES3_DF16_DF16_DF16_fNS_16tensor_operation12element_wise11PassThroughES7_S7_DF16_DF16_EEvPKT2_PKT3_PT4_iiiT6_T7_T8_.numbered_sgpr, 12
	.set _ZN2ck17naive_gemm_kernelINS_13tensor_layout4gemm8RowMajorENS2_11ColumnMajorES3_DF16_DF16_DF16_fNS_16tensor_operation12element_wise11PassThroughES7_S7_DF16_DF16_EEvPKT2_PKT3_PT4_iiiT6_T7_T8_.num_named_barrier, 0
	.set _ZN2ck17naive_gemm_kernelINS_13tensor_layout4gemm8RowMajorENS2_11ColumnMajorES3_DF16_DF16_DF16_fNS_16tensor_operation12element_wise11PassThroughES7_S7_DF16_DF16_EEvPKT2_PKT3_PT4_iiiT6_T7_T8_.private_seg_size, 0
	.set _ZN2ck17naive_gemm_kernelINS_13tensor_layout4gemm8RowMajorENS2_11ColumnMajorES3_DF16_DF16_DF16_fNS_16tensor_operation12element_wise11PassThroughES7_S7_DF16_DF16_EEvPKT2_PKT3_PT4_iiiT6_T7_T8_.uses_vcc, 1
	.set _ZN2ck17naive_gemm_kernelINS_13tensor_layout4gemm8RowMajorENS2_11ColumnMajorES3_DF16_DF16_DF16_fNS_16tensor_operation12element_wise11PassThroughES7_S7_DF16_DF16_EEvPKT2_PKT3_PT4_iiiT6_T7_T8_.uses_flat_scratch, 0
	.set _ZN2ck17naive_gemm_kernelINS_13tensor_layout4gemm8RowMajorENS2_11ColumnMajorES3_DF16_DF16_DF16_fNS_16tensor_operation12element_wise11PassThroughES7_S7_DF16_DF16_EEvPKT2_PKT3_PT4_iiiT6_T7_T8_.has_dyn_sized_stack, 0
	.set _ZN2ck17naive_gemm_kernelINS_13tensor_layout4gemm8RowMajorENS2_11ColumnMajorES3_DF16_DF16_DF16_fNS_16tensor_operation12element_wise11PassThroughES7_S7_DF16_DF16_EEvPKT2_PKT3_PT4_iiiT6_T7_T8_.has_recursion, 0
	.set _ZN2ck17naive_gemm_kernelINS_13tensor_layout4gemm8RowMajorENS2_11ColumnMajorES3_DF16_DF16_DF16_fNS_16tensor_operation12element_wise11PassThroughES7_S7_DF16_DF16_EEvPKT2_PKT3_PT4_iiiT6_T7_T8_.has_indirect_call, 0
	.section	.AMDGPU.csdata,"",@progbits
; Kernel info:
; codeLenInByte = 396
; TotalNumSgprs: 14
; NumVgprs: 9
; ScratchSize: 0
; MemoryBound: 0
; FloatMode: 240
; IeeeMode: 1
; LDSByteSize: 0 bytes/workgroup (compile time only)
; SGPRBlocks: 0
; VGPRBlocks: 1
; NumSGPRsForWavesPerEU: 14
; NumVGPRsForWavesPerEU: 9
; Occupancy: 16
; WaveLimiterHint : 0
; COMPUTE_PGM_RSRC2:SCRATCH_EN: 0
; COMPUTE_PGM_RSRC2:USER_SGPR: 2
; COMPUTE_PGM_RSRC2:TRAP_HANDLER: 0
; COMPUTE_PGM_RSRC2:TGID_X_EN: 1
; COMPUTE_PGM_RSRC2:TGID_Y_EN: 1
; COMPUTE_PGM_RSRC2:TGID_Z_EN: 0
; COMPUTE_PGM_RSRC2:TIDIG_COMP_CNT: 1
	.section	.AMDGPU.gpr_maximums,"",@progbits
	.set amdgpu.max_num_vgpr, 0
	.set amdgpu.max_num_agpr, 0
	.set amdgpu.max_num_sgpr, 0
	.section	.AMDGPU.csdata,"",@progbits
	.type	__hip_cuid_dcfa2800b7af9bdb,@object ; @__hip_cuid_dcfa2800b7af9bdb
	.section	.bss,"aw",@nobits
	.globl	__hip_cuid_dcfa2800b7af9bdb
__hip_cuid_dcfa2800b7af9bdb:
	.byte	0                               ; 0x0
	.size	__hip_cuid_dcfa2800b7af9bdb, 1

	.ident	"AMD clang version 22.0.0git (https://github.com/RadeonOpenCompute/llvm-project roc-7.2.4 26084 f58b06dce1f9c15707c5f808fd002e18c2accf7e)"
	.section	".note.GNU-stack","",@progbits
	.addrsig
	.addrsig_sym __hip_cuid_dcfa2800b7af9bdb
	.amdgpu_metadata
---
amdhsa.kernels:
  - .args:           []
    .group_segment_fixed_size: 0
    .kernarg_segment_align: 4
    .kernarg_segment_size: 0
    .language:       OpenCL C
    .language_version:
      - 2
      - 0
    .max_flat_workgroup_size: 1024
    .name:           _ZN2ckL12flush_icacheEv
    .private_segment_fixed_size: 0
    .sgpr_count:     0
    .sgpr_spill_count: 0
    .symbol:         _ZN2ckL12flush_icacheEv.kd
    .uniform_work_group_size: 1
    .uses_dynamic_stack: false
    .vgpr_count:     0
    .vgpr_spill_count: 0
    .wavefront_size: 32
    .workgroup_processor_mode: 1
  - .args:
      - .actual_access:  read_only
        .address_space:  global
        .offset:         0
        .size:           8
        .value_kind:     global_buffer
      - .actual_access:  read_only
        .address_space:  global
        .offset:         8
        .size:           8
        .value_kind:     global_buffer
      - .actual_access:  read_only
        .address_space:  global
        .offset:         16
        .size:           8
        .value_kind:     global_buffer
      - .offset:         24
        .size:           1
        .value_kind:     by_value
      - .offset:         25
        .size:           1
        .value_kind:     by_value
      - .offset:         26
        .size:           1
        .value_kind:     by_value
      - .offset:         32
        .size:           56
        .value_kind:     by_value
      - .offset:         88
        .size:           56
        .value_kind:     by_value
      - .offset:         144
        .size:           64
        .value_kind:     by_value
      - .offset:         208
        .size:           68
        .value_kind:     by_value
    .group_segment_fixed_size: 0
    .kernarg_segment_align: 8
    .kernarg_segment_size: 276
    .language:       OpenCL C
    .language_version:
      - 2
      - 0
    .max_flat_workgroup_size: 512
    .name:           _ZN2ck37kernel_gemm_xdl_waveletmodel_cshuffleINS_53GridwiseGemm_k0mk1_k0nk1_mn_xdl_waveletmodel_cshuffleIDF16_fDF16_DF16_NS_16tensor_operation12element_wise11PassThroughES4_S4_LNS_25InMemoryDataOperationEnumE0ENS_16TensorDescriptorINS_5TupleIJNS_5EmbedINS7_IJiiEEENS7_IJiNS_17integral_constantIiLi1EEEEEELb0EEENS_11PassThroughIiEESF_EEENS7_IJNS_8SequenceIJLi0EEEENSH_IJLi1EEEENSH_IJLi2EEEEEEENS7_IJNSH_IJLi1ELi2EEEENSH_IJLi3EEEENSH_IJLi4EEEEEEENSH_IJLi3ELi4EEEElEESR_SR_Li1ELi256ELi256ELi256ELi128ELi32ELi8ELi8ELi16ELi16ELi8ELi4ENSH_IJLi4ELi64ELi1EEEENSH_IJLi1ELi0ELi2EEEEST_Li2ELi8ELi8ELb0ELi1ESS_ST_ST_Li2ELi8ELi8ELb0ELi1ELi1ELi1ENSH_IJLi1ELi32ELi1ELi8EEEELi4EEEDF16_DF16_S4_S4_S4_NS6_INS7_IJSD_SF_SF_NS_7UnMergeINS7_IJiNSA_IiLi8EEEEEELb0EEESF_EEENS7_IJSI_SJ_SK_SO_SN_EEENS7_IJSM_SN_SO_NSH_IJLi5ELi6EEEENSH_IJLi7EEEEEEENSH_IJLi5ELi7ELi6EEEElEES16_NS6_INS7_IJSD_SF_SF_NSW_INS7_IJiNSA_IiLi256EEEEEELb0EEENSW_INS7_IJiNSA_IiLi128EEEEEELb0EEEEEENS7_IJSI_SJ_SK_SN_SO_EEENS7_IJSM_SN_SO_S12_NSH_IJLi7ELi8EEEEEEENSH_IJLi5ELi6ELi7ELi8EEEElEENS_13TensorAdaptorINS7_IJNSW_ISC_Lb0EEES1K_NS_23Merge_v2_magic_divisionINS7_IJiiSB_SB_EEEEEEEENS7_IJSI_SJ_NSH_IJLi2ELi3ELi4ELi5EEEEEEENS7_IJNSH_IJLi2ELi4EEEENSH_IJLi3ELi5EEEENSH_IJLi6EEEEEEENSH_IJLi0ELi1EEEES1T_EELb1EEEvPKT0_S1Z_PT1_T2_T3_T4_T5_T6_T7_T8_
    .private_segment_fixed_size: 0
    .sgpr_count:     0
    .sgpr_spill_count: 0
    .symbol:         _ZN2ck37kernel_gemm_xdl_waveletmodel_cshuffleINS_53GridwiseGemm_k0mk1_k0nk1_mn_xdl_waveletmodel_cshuffleIDF16_fDF16_DF16_NS_16tensor_operation12element_wise11PassThroughES4_S4_LNS_25InMemoryDataOperationEnumE0ENS_16TensorDescriptorINS_5TupleIJNS_5EmbedINS7_IJiiEEENS7_IJiNS_17integral_constantIiLi1EEEEEELb0EEENS_11PassThroughIiEESF_EEENS7_IJNS_8SequenceIJLi0EEEENSH_IJLi1EEEENSH_IJLi2EEEEEEENS7_IJNSH_IJLi1ELi2EEEENSH_IJLi3EEEENSH_IJLi4EEEEEEENSH_IJLi3ELi4EEEElEESR_SR_Li1ELi256ELi256ELi256ELi128ELi32ELi8ELi8ELi16ELi16ELi8ELi4ENSH_IJLi4ELi64ELi1EEEENSH_IJLi1ELi0ELi2EEEEST_Li2ELi8ELi8ELb0ELi1ESS_ST_ST_Li2ELi8ELi8ELb0ELi1ELi1ELi1ENSH_IJLi1ELi32ELi1ELi8EEEELi4EEEDF16_DF16_S4_S4_S4_NS6_INS7_IJSD_SF_SF_NS_7UnMergeINS7_IJiNSA_IiLi8EEEEEELb0EEESF_EEENS7_IJSI_SJ_SK_SO_SN_EEENS7_IJSM_SN_SO_NSH_IJLi5ELi6EEEENSH_IJLi7EEEEEEENSH_IJLi5ELi7ELi6EEEElEES16_NS6_INS7_IJSD_SF_SF_NSW_INS7_IJiNSA_IiLi256EEEEEELb0EEENSW_INS7_IJiNSA_IiLi128EEEEEELb0EEEEEENS7_IJSI_SJ_SK_SN_SO_EEENS7_IJSM_SN_SO_S12_NSH_IJLi7ELi8EEEEEEENSH_IJLi5ELi6ELi7ELi8EEEElEENS_13TensorAdaptorINS7_IJNSW_ISC_Lb0EEES1K_NS_23Merge_v2_magic_divisionINS7_IJiiSB_SB_EEEEEEEENS7_IJSI_SJ_NSH_IJLi2ELi3ELi4ELi5EEEEEEENS7_IJNSH_IJLi2ELi4EEEENSH_IJLi3ELi5EEEENSH_IJLi6EEEEEEENSH_IJLi0ELi1EEEES1T_EELb1EEEvPKT0_S1Z_PT1_T2_T3_T4_T5_T6_T7_T8_.kd
    .uniform_work_group_size: 1
    .uses_dynamic_stack: false
    .vgpr_count:     0
    .vgpr_spill_count: 0
    .wavefront_size: 32
    .workgroup_processor_mode: 1
  - .args:
      - .actual_access:  read_only
        .address_space:  global
        .offset:         0
        .size:           8
        .value_kind:     global_buffer
      - .actual_access:  read_only
        .address_space:  global
        .offset:         8
        .size:           8
        .value_kind:     global_buffer
      - .actual_access:  read_only
        .address_space:  global
        .offset:         16
        .size:           8
        .value_kind:     global_buffer
      - .offset:         24
        .size:           1
        .value_kind:     by_value
      - .offset:         25
        .size:           1
        .value_kind:     by_value
      - .offset:         26
        .size:           1
        .value_kind:     by_value
      - .offset:         32
        .size:           56
        .value_kind:     by_value
      - .offset:         88
        .size:           56
        .value_kind:     by_value
      - .offset:         144
        .size:           64
        .value_kind:     by_value
      - .offset:         208
        .size:           68
        .value_kind:     by_value
    .group_segment_fixed_size: 0
    .kernarg_segment_align: 8
    .kernarg_segment_size: 276
    .language:       OpenCL C
    .language_version:
      - 2
      - 0
    .max_flat_workgroup_size: 512
    .name:           _ZN2ck37kernel_gemm_xdl_waveletmodel_cshuffleINS_53GridwiseGemm_k0mk1_k0nk1_mn_xdl_waveletmodel_cshuffleIDF16_fDF16_DF16_NS_16tensor_operation12element_wise11PassThroughES4_S4_LNS_25InMemoryDataOperationEnumE0ENS_16TensorDescriptorINS_5TupleIJNS_5EmbedINS7_IJiiEEENS7_IJiNS_17integral_constantIiLi1EEEEEELb0EEENS_11PassThroughIiEESF_EEENS7_IJNS_8SequenceIJLi0EEEENSH_IJLi1EEEENSH_IJLi2EEEEEEENS7_IJNSH_IJLi1ELi2EEEENSH_IJLi3EEEENSH_IJLi4EEEEEEENSH_IJLi3ELi4EEEElEESR_SR_Li1ELi256ELi256ELi256ELi128ELi32ELi8ELi8ELi16ELi16ELi8ELi4ENSH_IJLi4ELi64ELi1EEEENSH_IJLi1ELi0ELi2EEEEST_Li2ELi8ELi8ELb0ELi1ESS_ST_ST_Li2ELi8ELi8ELb0ELi1ELi1ELi1ENSH_IJLi1ELi32ELi1ELi8EEEELi4EEEDF16_DF16_S4_S4_S4_NS6_INS7_IJSD_SF_SF_NS_7UnMergeINS7_IJiNSA_IiLi8EEEEEELb0EEESF_EEENS7_IJSI_SJ_SK_SO_SN_EEENS7_IJSM_SN_SO_NSH_IJLi5ELi6EEEENSH_IJLi7EEEEEEENSH_IJLi5ELi7ELi6EEEElEES16_NS6_INS7_IJSD_SF_SF_NSW_INS7_IJiNSA_IiLi256EEEEEELb0EEENSW_INS7_IJiNSA_IiLi128EEEEEELb0EEEEEENS7_IJSI_SJ_SK_SN_SO_EEENS7_IJSM_SN_SO_S12_NSH_IJLi7ELi8EEEEEEENSH_IJLi5ELi6ELi7ELi8EEEElEENS_13TensorAdaptorINS7_IJNSW_ISC_Lb0EEES1K_NS_23Merge_v2_magic_divisionINS7_IJiiSB_SB_EEEEEEEENS7_IJSI_SJ_NSH_IJLi2ELi3ELi4ELi5EEEEEEENS7_IJNSH_IJLi2ELi4EEEENSH_IJLi3ELi5EEEENSH_IJLi6EEEEEEENSH_IJLi0ELi1EEEES1T_EELb0EEEvPKT0_S1Z_PT1_T2_T3_T4_T5_T6_T7_T8_
    .private_segment_fixed_size: 0
    .sgpr_count:     0
    .sgpr_spill_count: 0
    .symbol:         _ZN2ck37kernel_gemm_xdl_waveletmodel_cshuffleINS_53GridwiseGemm_k0mk1_k0nk1_mn_xdl_waveletmodel_cshuffleIDF16_fDF16_DF16_NS_16tensor_operation12element_wise11PassThroughES4_S4_LNS_25InMemoryDataOperationEnumE0ENS_16TensorDescriptorINS_5TupleIJNS_5EmbedINS7_IJiiEEENS7_IJiNS_17integral_constantIiLi1EEEEEELb0EEENS_11PassThroughIiEESF_EEENS7_IJNS_8SequenceIJLi0EEEENSH_IJLi1EEEENSH_IJLi2EEEEEEENS7_IJNSH_IJLi1ELi2EEEENSH_IJLi3EEEENSH_IJLi4EEEEEEENSH_IJLi3ELi4EEEElEESR_SR_Li1ELi256ELi256ELi256ELi128ELi32ELi8ELi8ELi16ELi16ELi8ELi4ENSH_IJLi4ELi64ELi1EEEENSH_IJLi1ELi0ELi2EEEEST_Li2ELi8ELi8ELb0ELi1ESS_ST_ST_Li2ELi8ELi8ELb0ELi1ELi1ELi1ENSH_IJLi1ELi32ELi1ELi8EEEELi4EEEDF16_DF16_S4_S4_S4_NS6_INS7_IJSD_SF_SF_NS_7UnMergeINS7_IJiNSA_IiLi8EEEEEELb0EEESF_EEENS7_IJSI_SJ_SK_SO_SN_EEENS7_IJSM_SN_SO_NSH_IJLi5ELi6EEEENSH_IJLi7EEEEEEENSH_IJLi5ELi7ELi6EEEElEES16_NS6_INS7_IJSD_SF_SF_NSW_INS7_IJiNSA_IiLi256EEEEEELb0EEENSW_INS7_IJiNSA_IiLi128EEEEEELb0EEEEEENS7_IJSI_SJ_SK_SN_SO_EEENS7_IJSM_SN_SO_S12_NSH_IJLi7ELi8EEEEEEENSH_IJLi5ELi6ELi7ELi8EEEElEENS_13TensorAdaptorINS7_IJNSW_ISC_Lb0EEES1K_NS_23Merge_v2_magic_divisionINS7_IJiiSB_SB_EEEEEEEENS7_IJSI_SJ_NSH_IJLi2ELi3ELi4ELi5EEEEEEENS7_IJNSH_IJLi2ELi4EEEENSH_IJLi3ELi5EEEENSH_IJLi6EEEEEEENSH_IJLi0ELi1EEEES1T_EELb0EEEvPKT0_S1Z_PT1_T2_T3_T4_T5_T6_T7_T8_.kd
    .uniform_work_group_size: 1
    .uses_dynamic_stack: false
    .vgpr_count:     0
    .vgpr_spill_count: 0
    .wavefront_size: 32
    .workgroup_processor_mode: 1
  - .args:
      - .actual_access:  read_only
        .address_space:  global
        .offset:         0
        .size:           8
        .value_kind:     global_buffer
      - .actual_access:  read_only
        .address_space:  global
        .offset:         8
        .size:           8
        .value_kind:     global_buffer
      - .actual_access:  write_only
        .address_space:  global
        .offset:         16
        .size:           8
        .value_kind:     global_buffer
      - .offset:         24
        .size:           1
        .value_kind:     by_value
      - .offset:         25
        .size:           1
        .value_kind:     by_value
      - .offset:         26
        .size:           1
        .value_kind:     by_value
      - .offset:         32
        .size:           56
        .value_kind:     by_value
      - .offset:         88
        .size:           56
        .value_kind:     by_value
      - .offset:         144
        .size:           64
        .value_kind:     by_value
      - .offset:         208
        .size:           68
        .value_kind:     by_value
    .group_segment_fixed_size: 24672
    .kernarg_segment_align: 8
    .kernarg_segment_size: 276
    .language:       OpenCL C
    .language_version:
      - 2
      - 0
    .max_flat_workgroup_size: 512
    .name:           _ZN2ck37kernel_gemm_xdl_waveletmodel_cshuffleINS_53GridwiseGemm_k0mk1_k0nk1_mn_xdl_waveletmodel_cshuffleIDF16_fDF16_DF16_NS_16tensor_operation12element_wise11PassThroughES4_S4_LNS_25InMemoryDataOperationEnumE0ENS_16TensorDescriptorINS_5TupleIJNS_5EmbedINS7_IJiiEEENS7_IJiNS_17integral_constantIiLi1EEEEEELb0EEENS_11PassThroughIiEESF_EEENS7_IJNS_8SequenceIJLi0EEEENSH_IJLi1EEEENSH_IJLi2EEEEEEENS7_IJNSH_IJLi1ELi2EEEENSH_IJLi3EEEENSH_IJLi4EEEEEEENSH_IJLi3ELi4EEEElEESR_SR_Li1ELi256ELi256ELi256ELi128ELi32ELi8ELi8ELi16ELi16ELi8ELi2ENSH_IJLi4ELi64ELi1EEEENSH_IJLi1ELi0ELi2EEEEST_Li2ELi8ELi8ELb0ELi1ESS_ST_ST_Li2ELi8ELi8ELb0ELi1ELi1ELi1ENSH_IJLi1ELi32ELi1ELi8EEEELi4EEEDF16_DF16_S4_S4_S4_NS6_INS7_IJSD_SF_SF_NS_7UnMergeINS7_IJiNSA_IiLi8EEEEEELb0EEESF_EEENS7_IJSI_SJ_SK_SO_SN_EEENS7_IJSM_SN_SO_NSH_IJLi5ELi6EEEENSH_IJLi7EEEEEEENSH_IJLi5ELi7ELi6EEEElEES16_NS6_INS7_IJSD_SF_SF_NSW_INS7_IJiNSA_IiLi256EEEEEELb0EEENSW_INS7_IJiNSA_IiLi128EEEEEELb0EEEEEENS7_IJSI_SJ_SK_SN_SO_EEENS7_IJSM_SN_SO_S12_NSH_IJLi7ELi8EEEEEEENSH_IJLi5ELi6ELi7ELi8EEEElEENS_13TensorAdaptorINS7_IJNSW_ISC_Lb0EEES1K_NS_23Merge_v2_magic_divisionINS7_IJiiSB_SB_EEEEEEEENS7_IJSI_SJ_NSH_IJLi2ELi3ELi4ELi5EEEEEEENS7_IJNSH_IJLi2ELi4EEEENSH_IJLi3ELi5EEEENSH_IJLi6EEEEEEENSH_IJLi0ELi1EEEES1T_EELb1EEEvPKT0_S1Z_PT1_T2_T3_T4_T5_T6_T7_T8_
    .private_segment_fixed_size: 0
    .sgpr_count:     17
    .sgpr_spill_count: 0
    .symbol:         _ZN2ck37kernel_gemm_xdl_waveletmodel_cshuffleINS_53GridwiseGemm_k0mk1_k0nk1_mn_xdl_waveletmodel_cshuffleIDF16_fDF16_DF16_NS_16tensor_operation12element_wise11PassThroughES4_S4_LNS_25InMemoryDataOperationEnumE0ENS_16TensorDescriptorINS_5TupleIJNS_5EmbedINS7_IJiiEEENS7_IJiNS_17integral_constantIiLi1EEEEEELb0EEENS_11PassThroughIiEESF_EEENS7_IJNS_8SequenceIJLi0EEEENSH_IJLi1EEEENSH_IJLi2EEEEEEENS7_IJNSH_IJLi1ELi2EEEENSH_IJLi3EEEENSH_IJLi4EEEEEEENSH_IJLi3ELi4EEEElEESR_SR_Li1ELi256ELi256ELi256ELi128ELi32ELi8ELi8ELi16ELi16ELi8ELi2ENSH_IJLi4ELi64ELi1EEEENSH_IJLi1ELi0ELi2EEEEST_Li2ELi8ELi8ELb0ELi1ESS_ST_ST_Li2ELi8ELi8ELb0ELi1ELi1ELi1ENSH_IJLi1ELi32ELi1ELi8EEEELi4EEEDF16_DF16_S4_S4_S4_NS6_INS7_IJSD_SF_SF_NS_7UnMergeINS7_IJiNSA_IiLi8EEEEEELb0EEESF_EEENS7_IJSI_SJ_SK_SO_SN_EEENS7_IJSM_SN_SO_NSH_IJLi5ELi6EEEENSH_IJLi7EEEEEEENSH_IJLi5ELi7ELi6EEEElEES16_NS6_INS7_IJSD_SF_SF_NSW_INS7_IJiNSA_IiLi256EEEEEELb0EEENSW_INS7_IJiNSA_IiLi128EEEEEELb0EEEEEENS7_IJSI_SJ_SK_SN_SO_EEENS7_IJSM_SN_SO_S12_NSH_IJLi7ELi8EEEEEEENSH_IJLi5ELi6ELi7ELi8EEEElEENS_13TensorAdaptorINS7_IJNSW_ISC_Lb0EEES1K_NS_23Merge_v2_magic_divisionINS7_IJiiSB_SB_EEEEEEEENS7_IJSI_SJ_NSH_IJLi2ELi3ELi4ELi5EEEEEEENS7_IJNSH_IJLi2ELi4EEEENSH_IJLi3ELi5EEEENSH_IJLi6EEEEEEENSH_IJLi0ELi1EEEES1T_EELb1EEEvPKT0_S1Z_PT1_T2_T3_T4_T5_T6_T7_T8_.kd
    .uniform_work_group_size: 1
    .uses_dynamic_stack: false
    .vgpr_count:     209
    .vgpr_spill_count: 0
    .wavefront_size: 32
    .workgroup_processor_mode: 1
  - .args:
      - .actual_access:  read_only
        .address_space:  global
        .offset:         0
        .size:           8
        .value_kind:     global_buffer
      - .actual_access:  read_only
        .address_space:  global
        .offset:         8
        .size:           8
        .value_kind:     global_buffer
      - .actual_access:  write_only
        .address_space:  global
        .offset:         16
        .size:           8
        .value_kind:     global_buffer
      - .offset:         24
        .size:           1
        .value_kind:     by_value
      - .offset:         25
        .size:           1
        .value_kind:     by_value
      - .offset:         26
        .size:           1
        .value_kind:     by_value
      - .offset:         32
        .size:           56
        .value_kind:     by_value
      - .offset:         88
        .size:           56
        .value_kind:     by_value
      - .offset:         144
        .size:           64
        .value_kind:     by_value
      - .offset:         208
        .size:           68
        .value_kind:     by_value
    .group_segment_fixed_size: 24672
    .kernarg_segment_align: 8
    .kernarg_segment_size: 276
    .language:       OpenCL C
    .language_version:
      - 2
      - 0
    .max_flat_workgroup_size: 512
    .name:           _ZN2ck37kernel_gemm_xdl_waveletmodel_cshuffleINS_53GridwiseGemm_k0mk1_k0nk1_mn_xdl_waveletmodel_cshuffleIDF16_fDF16_DF16_NS_16tensor_operation12element_wise11PassThroughES4_S4_LNS_25InMemoryDataOperationEnumE0ENS_16TensorDescriptorINS_5TupleIJNS_5EmbedINS7_IJiiEEENS7_IJiNS_17integral_constantIiLi1EEEEEELb0EEENS_11PassThroughIiEESF_EEENS7_IJNS_8SequenceIJLi0EEEENSH_IJLi1EEEENSH_IJLi2EEEEEEENS7_IJNSH_IJLi1ELi2EEEENSH_IJLi3EEEENSH_IJLi4EEEEEEENSH_IJLi3ELi4EEEElEESR_SR_Li1ELi256ELi256ELi256ELi128ELi32ELi8ELi8ELi16ELi16ELi8ELi2ENSH_IJLi4ELi64ELi1EEEENSH_IJLi1ELi0ELi2EEEEST_Li2ELi8ELi8ELb0ELi1ESS_ST_ST_Li2ELi8ELi8ELb0ELi1ELi1ELi1ENSH_IJLi1ELi32ELi1ELi8EEEELi4EEEDF16_DF16_S4_S4_S4_NS6_INS7_IJSD_SF_SF_NS_7UnMergeINS7_IJiNSA_IiLi8EEEEEELb0EEESF_EEENS7_IJSI_SJ_SK_SO_SN_EEENS7_IJSM_SN_SO_NSH_IJLi5ELi6EEEENSH_IJLi7EEEEEEENSH_IJLi5ELi7ELi6EEEElEES16_NS6_INS7_IJSD_SF_SF_NSW_INS7_IJiNSA_IiLi256EEEEEELb0EEENSW_INS7_IJiNSA_IiLi128EEEEEELb0EEEEEENS7_IJSI_SJ_SK_SN_SO_EEENS7_IJSM_SN_SO_S12_NSH_IJLi7ELi8EEEEEEENSH_IJLi5ELi6ELi7ELi8EEEElEENS_13TensorAdaptorINS7_IJNSW_ISC_Lb0EEES1K_NS_23Merge_v2_magic_divisionINS7_IJiiSB_SB_EEEEEEEENS7_IJSI_SJ_NSH_IJLi2ELi3ELi4ELi5EEEEEEENS7_IJNSH_IJLi2ELi4EEEENSH_IJLi3ELi5EEEENSH_IJLi6EEEEEEENSH_IJLi0ELi1EEEES1T_EELb0EEEvPKT0_S1Z_PT1_T2_T3_T4_T5_T6_T7_T8_
    .private_segment_fixed_size: 0
    .sgpr_count:     13
    .sgpr_spill_count: 0
    .symbol:         _ZN2ck37kernel_gemm_xdl_waveletmodel_cshuffleINS_53GridwiseGemm_k0mk1_k0nk1_mn_xdl_waveletmodel_cshuffleIDF16_fDF16_DF16_NS_16tensor_operation12element_wise11PassThroughES4_S4_LNS_25InMemoryDataOperationEnumE0ENS_16TensorDescriptorINS_5TupleIJNS_5EmbedINS7_IJiiEEENS7_IJiNS_17integral_constantIiLi1EEEEEELb0EEENS_11PassThroughIiEESF_EEENS7_IJNS_8SequenceIJLi0EEEENSH_IJLi1EEEENSH_IJLi2EEEEEEENS7_IJNSH_IJLi1ELi2EEEENSH_IJLi3EEEENSH_IJLi4EEEEEEENSH_IJLi3ELi4EEEElEESR_SR_Li1ELi256ELi256ELi256ELi128ELi32ELi8ELi8ELi16ELi16ELi8ELi2ENSH_IJLi4ELi64ELi1EEEENSH_IJLi1ELi0ELi2EEEEST_Li2ELi8ELi8ELb0ELi1ESS_ST_ST_Li2ELi8ELi8ELb0ELi1ELi1ELi1ENSH_IJLi1ELi32ELi1ELi8EEEELi4EEEDF16_DF16_S4_S4_S4_NS6_INS7_IJSD_SF_SF_NS_7UnMergeINS7_IJiNSA_IiLi8EEEEEELb0EEESF_EEENS7_IJSI_SJ_SK_SO_SN_EEENS7_IJSM_SN_SO_NSH_IJLi5ELi6EEEENSH_IJLi7EEEEEEENSH_IJLi5ELi7ELi6EEEElEES16_NS6_INS7_IJSD_SF_SF_NSW_INS7_IJiNSA_IiLi256EEEEEELb0EEENSW_INS7_IJiNSA_IiLi128EEEEEELb0EEEEEENS7_IJSI_SJ_SK_SN_SO_EEENS7_IJSM_SN_SO_S12_NSH_IJLi7ELi8EEEEEEENSH_IJLi5ELi6ELi7ELi8EEEElEENS_13TensorAdaptorINS7_IJNSW_ISC_Lb0EEES1K_NS_23Merge_v2_magic_divisionINS7_IJiiSB_SB_EEEEEEEENS7_IJSI_SJ_NSH_IJLi2ELi3ELi4ELi5EEEEEEENS7_IJNSH_IJLi2ELi4EEEENSH_IJLi3ELi5EEEENSH_IJLi6EEEEEEENSH_IJLi0ELi1EEEES1T_EELb0EEEvPKT0_S1Z_PT1_T2_T3_T4_T5_T6_T7_T8_.kd
    .uniform_work_group_size: 1
    .uses_dynamic_stack: false
    .vgpr_count:     96
    .vgpr_spill_count: 0
    .wavefront_size: 32
    .workgroup_processor_mode: 1
  - .args:
      - .actual_access:  read_only
        .address_space:  global
        .offset:         0
        .size:           8
        .value_kind:     global_buffer
      - .actual_access:  read_only
        .address_space:  global
        .offset:         8
        .size:           8
        .value_kind:     global_buffer
      - .actual_access:  write_only
        .address_space:  global
        .offset:         16
        .size:           8
        .value_kind:     global_buffer
      - .offset:         24
        .size:           4
        .value_kind:     by_value
      - .offset:         28
        .size:           4
        .value_kind:     by_value
      - .offset:         32
        .size:           4
        .value_kind:     by_value
      - .offset:         36
        .size:           1
        .value_kind:     by_value
      - .offset:         37
        .size:           1
        .value_kind:     by_value
      - .offset:         38
        .size:           1
        .value_kind:     by_value
      - .offset:         40
        .size:           4
        .value_kind:     hidden_block_count_x
      - .offset:         44
        .size:           4
        .value_kind:     hidden_block_count_y
      - .offset:         48
        .size:           4
        .value_kind:     hidden_block_count_z
      - .offset:         52
        .size:           2
        .value_kind:     hidden_group_size_x
      - .offset:         54
        .size:           2
        .value_kind:     hidden_group_size_y
      - .offset:         56
        .size:           2
        .value_kind:     hidden_group_size_z
      - .offset:         58
        .size:           2
        .value_kind:     hidden_remainder_x
      - .offset:         60
        .size:           2
        .value_kind:     hidden_remainder_y
      - .offset:         62
        .size:           2
        .value_kind:     hidden_remainder_z
      - .offset:         80
        .size:           8
        .value_kind:     hidden_global_offset_x
      - .offset:         88
        .size:           8
        .value_kind:     hidden_global_offset_y
      - .offset:         96
        .size:           8
        .value_kind:     hidden_global_offset_z
      - .offset:         104
        .size:           2
        .value_kind:     hidden_grid_dims
    .group_segment_fixed_size: 0
    .kernarg_segment_align: 8
    .kernarg_segment_size: 296
    .language:       OpenCL C
    .language_version:
      - 2
      - 0
    .max_flat_workgroup_size: 256
    .name:           _ZN2ck17naive_gemm_kernelINS_13tensor_layout4gemm8RowMajorENS2_11ColumnMajorES3_DF16_DF16_DF16_fNS_16tensor_operation12element_wise11PassThroughES7_S7_DF16_DF16_EEvPKT2_PKT3_PT4_iiiT6_T7_T8_
    .private_segment_fixed_size: 0
    .sgpr_count:     14
    .sgpr_spill_count: 0
    .symbol:         _ZN2ck17naive_gemm_kernelINS_13tensor_layout4gemm8RowMajorENS2_11ColumnMajorES3_DF16_DF16_DF16_fNS_16tensor_operation12element_wise11PassThroughES7_S7_DF16_DF16_EEvPKT2_PKT3_PT4_iiiT6_T7_T8_.kd
    .uniform_work_group_size: 1
    .uses_dynamic_stack: false
    .vgpr_count:     9
    .vgpr_spill_count: 0
    .wavefront_size: 32
    .workgroup_processor_mode: 1
amdhsa.target:   amdgcn-amd-amdhsa--gfx1201
amdhsa.version:
  - 1
  - 2
...

	.end_amdgpu_metadata
